;; amdgpu-corpus repo=ROCm/rocFFT kind=compiled arch=gfx906 opt=O3
	.text
	.amdgcn_target "amdgcn-amd-amdhsa--gfx906"
	.amdhsa_code_object_version 6
	.protected	bluestein_single_back_len459_dim1_dp_op_CI_CI ; -- Begin function bluestein_single_back_len459_dim1_dp_op_CI_CI
	.globl	bluestein_single_back_len459_dim1_dp_op_CI_CI
	.p2align	8
	.type	bluestein_single_back_len459_dim1_dp_op_CI_CI,@function
bluestein_single_back_len459_dim1_dp_op_CI_CI: ; @bluestein_single_back_len459_dim1_dp_op_CI_CI
; %bb.0:
	s_mov_b64 s[62:63], s[2:3]
	v_mul_u32_u24_e32 v1, 0x506, v0
	s_mov_b64 s[60:61], s[0:1]
	s_load_dwordx4 s[0:3], s[4:5], 0x28
	v_lshrrev_b32_e32 v1, 16, v1
	s_add_u32 s60, s60, s7
	v_mad_u64_u32 v[3:4], s[6:7], s6, 5, v[1:2]
	v_mov_b32_e32 v4, 0
	s_addc_u32 s61, s61, 0
	s_waitcnt lgkmcnt(0)
	v_cmp_gt_u64_e32 vcc, s[0:1], v[3:4]
	s_and_saveexec_b64 s[0:1], vcc
	s_cbranch_execz .LBB0_15
; %bb.1:
	s_mov_b32 s0, 0xcccccccd
	v_mul_hi_u32 v2, v3, s0
	v_mul_lo_u16_e32 v1, 51, v1
	s_load_dwordx2 s[12:13], s[4:5], 0x0
	s_load_dwordx2 s[14:15], s[4:5], 0x38
	v_sub_u16_e32 v160, v0, v1
	v_lshrrev_b32_e32 v0, 2, v2
	v_lshl_add_u32 v0, v0, 2, v0
	v_sub_u32_e32 v0, v3, v0
	v_mul_u32_u24_e32 v255, 0x1cb, v0
	v_mov_b32_e32 v1, v3
	v_cmp_gt_u16_e64 s[0:1], 27, v160
	v_lshlrev_b32_e32 v0, 4, v255
	buffer_store_dword v1, off, s[60:63], 0 ; 4-byte Folded Spill
	s_nop 0
	buffer_store_dword v2, off, s[60:63], 0 offset:4 ; 4-byte Folded Spill
	buffer_store_dword v0, off, s[60:63], 0 offset:8 ; 4-byte Folded Spill
	s_and_saveexec_b64 s[6:7], s[0:1]
	s_cbranch_execz .LBB0_3
; %bb.2:
	s_load_dwordx2 s[8:9], s[4:5], 0x18
	v_lshlrev_b32_e32 v140, 4, v160
	s_waitcnt lgkmcnt(0)
	v_mov_b32_e32 v46, s13
	s_load_dwordx4 s[8:11], s[8:9], 0x0
	buffer_load_dword v0, off, s[60:63], 0  ; 4-byte Folded Reload
	buffer_load_dword v1, off, s[60:63], 0 offset:4 ; 4-byte Folded Reload
	s_waitcnt lgkmcnt(0)
	v_mad_u64_u32 v[2:3], s[16:17], s8, v160, 0
	s_waitcnt vmcnt(1)
	v_mov_b32_e32 v4, v0
	s_waitcnt vmcnt(0)
	v_mad_u64_u32 v[0:1], s[16:17], s10, v4, 0
	v_mad_u64_u32 v[4:5], s[10:11], s11, v4, v[1:2]
	;; [unrolled: 1-line block ×3, first 2 shown]
	v_mov_b32_e32 v1, v4
	v_lshlrev_b64 v[0:1], 4, v[0:1]
	v_mov_b32_e32 v3, v5
	v_mov_b32_e32 v6, s3
	v_lshlrev_b64 v[2:3], 4, v[2:3]
	v_add_co_u32_e32 v0, vcc, s2, v0
	v_addc_co_u32_e32 v1, vcc, v6, v1, vcc
	v_add_co_u32_e32 v44, vcc, v0, v2
	v_addc_co_u32_e32 v45, vcc, v1, v3, vcc
	global_load_dwordx4 v[0:3], v140, s[12:13]
	global_load_dwordx4 v[4:7], v[44:45], off
	v_add_co_u32_e32 v86, vcc, s12, v140
	s_mul_i32 s3, s9, 0x1b0
	s_mul_hi_u32 s9, s8, 0x1b0
	v_addc_co_u32_e32 v87, vcc, 0, v46, vcc
	s_mul_i32 s2, s8, 0x1b0
	s_add_i32 s3, s9, s3
	v_mov_b32_e32 v46, s3
	v_add_co_u32_e32 v47, vcc, s2, v44
	v_addc_co_u32_e32 v48, vcc, v45, v46, vcc
	v_mov_b32_e32 v50, s3
	v_add_co_u32_e32 v49, vcc, s2, v47
	v_addc_co_u32_e32 v50, vcc, v48, v50, vcc
	;; [unrolled: 3-line block ×4, first 2 shown]
	global_load_dwordx4 v[8:11], v140, s[12:13] offset:432
	global_load_dwordx4 v[12:15], v140, s[12:13] offset:864
	;; [unrolled: 1-line block ×9, first 2 shown]
	v_add_co_u32_e32 v63, vcc, s2, v59
	global_load_dwordx4 v[44:47], v[47:48], off
	v_mov_b32_e32 v61, s3
	global_load_dwordx4 v[52:55], v[55:56], off
	v_addc_co_u32_e32 v64, vcc, v60, v61, vcc
	global_load_dwordx4 v[48:51], v[49:50], off
	v_mov_b32_e32 v65, s3
	global_load_dwordx4 v[56:59], v[59:60], off
	v_add_co_u32_e32 v67, vcc, s2, v63
	v_addc_co_u32_e32 v68, vcc, v64, v65, vcc
	v_mov_b32_e32 v69, s3
	v_add_co_u32_e32 v71, vcc, s2, v67
	v_addc_co_u32_e32 v72, vcc, v68, v69, vcc
	v_mov_b32_e32 v73, s3
	v_add_co_u32_e32 v75, vcc, s2, v71
	global_load_dwordx4 v[60:63], v[63:64], off
	v_addc_co_u32_e32 v76, vcc, v72, v73, vcc
	v_mov_b32_e32 v77, s3
	global_load_dwordx4 v[64:67], v[67:68], off
	v_add_co_u32_e32 v79, vcc, s2, v75
	global_load_dwordx4 v[68:71], v[71:72], off
	v_addc_co_u32_e32 v80, vcc, v76, v77, vcc
	v_mov_b32_e32 v81, s3
	global_load_dwordx4 v[72:75], v[75:76], off
	v_add_co_u32_e32 v84, vcc, s2, v79
	v_addc_co_u32_e32 v85, vcc, v80, v81, vcc
	s_movk_i32 s8, 0x1000
	v_add_co_u32_e32 v132, vcc, s8, v86
	v_addc_co_u32_e32 v133, vcc, 0, v87, vcc
	v_mov_b32_e32 v86, s3
	v_add_co_u32_e32 v96, vcc, s2, v84
	v_addc_co_u32_e32 v97, vcc, v85, v86, vcc
	v_mov_b32_e32 v98, s3
	;; [unrolled: 3-line block ×3, first 2 shown]
	v_add_co_u32_e32 v112, vcc, s2, v100
	global_load_dwordx4 v[76:79], v[79:80], off
	v_addc_co_u32_e32 v113, vcc, v101, v102, vcc
	global_load_dwordx4 v[80:83], v[84:85], off
	v_mov_b32_e32 v114, s3
	v_add_co_u32_e32 v116, vcc, s2, v112
	global_load_dwordx4 v[84:87], v[96:97], off
	global_load_dwordx4 v[88:91], v[132:133], off offset:224
	global_load_dwordx4 v[92:95], v[132:133], off offset:656
	v_addc_co_u32_e32 v117, vcc, v113, v114, vcc
	global_load_dwordx4 v[96:99], v[100:101], off
	v_mov_b32_e32 v118, s3
	v_add_co_u32_e32 v128, vcc, s2, v116
	global_load_dwordx4 v[100:103], v[112:113], off
	global_load_dwordx4 v[104:107], v[132:133], off offset:1088
	global_load_dwordx4 v[108:111], v[132:133], off offset:1520
	v_addc_co_u32_e32 v129, vcc, v117, v118, vcc
	global_load_dwordx4 v[112:115], v[116:117], off
	s_nop 0
	global_load_dwordx4 v[116:119], v[128:129], off
	global_load_dwordx4 v[120:123], v[132:133], off offset:1952
	global_load_dwordx4 v[124:127], v[132:133], off offset:2384
	v_mov_b32_e32 v130, s3
	v_add_co_u32_e32 v128, vcc, s2, v128
	v_addc_co_u32_e32 v129, vcc, v129, v130, vcc
	global_load_dwordx4 v[128:131], v[128:129], off
	s_nop 0
	global_load_dwordx4 v[132:135], v[132:133], off offset:2816
	s_waitcnt vmcnt(32)
	v_mul_f64 v[136:137], v[6:7], v[2:3]
	v_mul_f64 v[138:139], v[4:5], v[2:3]
	v_fma_f64 v[2:3], v[4:5], v[0:1], v[136:137]
	v_fma_f64 v[4:5], v[6:7], v[0:1], -v[138:139]
	v_lshlrev_b32_e32 v136, 4, v255
	v_lshl_add_u32 v6, v160, 4, v136
	s_waitcnt vmcnt(22)
	v_mul_f64 v[0:1], v[46:47], v[10:11]
	ds_write_b128 v6, v[2:5]
	v_mul_f64 v[2:3], v[44:45], v[10:11]
	s_waitcnt vmcnt(20)
	v_mul_f64 v[4:5], v[50:51], v[14:15]
	v_mul_f64 v[6:7], v[48:49], v[14:15]
	;; [unrolled: 1-line block ×4, first 2 shown]
	s_waitcnt vmcnt(19)
	v_mul_f64 v[18:19], v[58:59], v[22:23]
	v_mul_f64 v[22:23], v[56:57], v[22:23]
	v_fma_f64 v[0:1], v[44:45], v[8:9], v[0:1]
	v_fma_f64 v[2:3], v[46:47], v[8:9], -v[2:3]
	v_fma_f64 v[4:5], v[48:49], v[12:13], v[4:5]
	v_fma_f64 v[6:7], v[50:51], v[12:13], -v[6:7]
	;; [unrolled: 2-line block ×3, first 2 shown]
	v_fma_f64 v[12:13], v[56:57], v[20:21], v[18:19]
	s_waitcnt vmcnt(18)
	v_mul_f64 v[16:17], v[62:63], v[26:27]
	v_mul_f64 v[18:19], v[60:61], v[26:27]
	v_fma_f64 v[14:15], v[58:59], v[20:21], -v[22:23]
	s_waitcnt vmcnt(17)
	v_mul_f64 v[20:21], v[66:67], v[30:31]
	v_mul_f64 v[22:23], v[64:65], v[30:31]
	s_waitcnt vmcnt(16)
	v_mul_f64 v[26:27], v[70:71], v[34:35]
	v_mul_f64 v[30:31], v[68:69], v[34:35]
	;; [unrolled: 3-line block ×3, first 2 shown]
	v_fma_f64 v[16:17], v[60:61], v[24:25], v[16:17]
	v_fma_f64 v[18:19], v[62:63], v[24:25], -v[18:19]
	v_fma_f64 v[20:21], v[64:65], v[28:29], v[20:21]
	v_fma_f64 v[22:23], v[66:67], v[28:29], -v[22:23]
	;; [unrolled: 2-line block ×3, first 2 shown]
	v_add_u32_e32 v44, v136, v140
	v_fma_f64 v[28:29], v[72:73], v[36:37], v[34:35]
	v_fma_f64 v[30:31], v[74:75], v[36:37], -v[38:39]
	ds_write_b128 v44, v[0:3] offset:432
	ds_write_b128 v44, v[4:7] offset:864
	;; [unrolled: 1-line block ×8, first 2 shown]
	s_waitcnt vmcnt(14)
	v_mul_f64 v[0:1], v[78:79], v[42:43]
	v_mul_f64 v[2:3], v[76:77], v[42:43]
	s_waitcnt vmcnt(11)
	v_mul_f64 v[4:5], v[82:83], v[90:91]
	v_mul_f64 v[6:7], v[80:81], v[90:91]
	;; [unrolled: 3-line block ×3, first 2 shown]
	v_fma_f64 v[0:1], v[76:77], v[40:41], v[0:1]
	v_fma_f64 v[2:3], v[78:79], v[40:41], -v[2:3]
	s_waitcnt vmcnt(7)
	v_mul_f64 v[12:13], v[98:99], v[106:107]
	v_mul_f64 v[14:15], v[96:97], v[106:107]
	s_waitcnt vmcnt(6)
	v_mul_f64 v[16:17], v[102:103], v[110:111]
	v_mul_f64 v[18:19], v[100:101], v[110:111]
	;; [unrolled: 3-line block ×4, first 2 shown]
	v_fma_f64 v[4:5], v[80:81], v[88:89], v[4:5]
	v_fma_f64 v[6:7], v[82:83], v[88:89], -v[6:7]
	v_fma_f64 v[8:9], v[84:85], v[92:93], v[8:9]
	s_waitcnt vmcnt(0)
	v_mul_f64 v[28:29], v[130:131], v[134:135]
	v_mul_f64 v[30:31], v[128:129], v[134:135]
	v_fma_f64 v[10:11], v[86:87], v[92:93], -v[10:11]
	v_fma_f64 v[12:13], v[96:97], v[104:105], v[12:13]
	v_fma_f64 v[14:15], v[98:99], v[104:105], -v[14:15]
	v_fma_f64 v[16:17], v[100:101], v[108:109], v[16:17]
	;; [unrolled: 2-line block ×5, first 2 shown]
	v_fma_f64 v[30:31], v[130:131], v[132:133], -v[30:31]
	ds_write_b128 v44, v[0:3] offset:3888
	ds_write_b128 v44, v[4:7] offset:4320
	;; [unrolled: 1-line block ×8, first 2 shown]
.LBB0_3:
	s_or_b64 exec, exec, s[6:7]
	s_load_dwordx2 s[6:7], s[4:5], 0x20
	s_load_dwordx2 s[2:3], s[4:5], 0x8
	s_waitcnt vmcnt(0) lgkmcnt(0)
	s_barrier
	s_waitcnt lgkmcnt(0)
                                        ; implicit-def: $vgpr32_vgpr33
                                        ; implicit-def: $vgpr84_vgpr85
                                        ; implicit-def: $vgpr88_vgpr89
                                        ; implicit-def: $vgpr92_vgpr93
                                        ; implicit-def: $vgpr96_vgpr97
                                        ; implicit-def: $vgpr80_vgpr81
                                        ; implicit-def: $vgpr44_vgpr45
                                        ; implicit-def: $vgpr36_vgpr37
                                        ; implicit-def: $vgpr40_vgpr41
                                        ; implicit-def: $vgpr48_vgpr49
                                        ; implicit-def: $vgpr52_vgpr53
                                        ; implicit-def: $vgpr56_vgpr57
                                        ; implicit-def: $vgpr60_vgpr61
                                        ; implicit-def: $vgpr64_vgpr65
                                        ; implicit-def: $vgpr68_vgpr69
                                        ; implicit-def: $vgpr72_vgpr73
                                        ; implicit-def: $vgpr76_vgpr77
	s_and_saveexec_b64 s[4:5], s[0:1]
	s_cbranch_execz .LBB0_5
; %bb.4:
	v_lshlrev_b32_e32 v0, 4, v160
	v_lshl_add_u32 v0, v255, 4, v0
	ds_read_b128 v[32:35], v0
	ds_read_b128 v[84:87], v0 offset:432
	ds_read_b128 v[88:91], v0 offset:864
	;; [unrolled: 1-line block ×16, first 2 shown]
.LBB0_5:
	s_or_b64 exec, exec, s[4:5]
	s_waitcnt lgkmcnt(0)
	v_add_f64 v[30:31], v[86:87], -v[78:79]
	v_add_f64 v[28:29], v[84:85], -v[76:77]
	s_mov_b32 s26, 0x5d8e7cdc
	s_mov_b32 s34, 0x2a9d6da3
	;; [unrolled: 1-line block ×6, first 2 shown]
	v_mul_f64 v[0:1], v[30:31], s[26:27]
	v_mul_f64 v[2:3], v[28:29], s[26:27]
	;; [unrolled: 1-line block ×6, first 2 shown]
	v_add_f64 v[187:188], v[90:91], -v[74:75]
	v_add_f64 v[175:176], v[88:89], -v[72:73]
	s_mov_b32 s36, 0xeb564b22
	s_mov_b32 s30, 0x6c9a05f6
	;; [unrolled: 1-line block ×4, first 2 shown]
	buffer_store_dword v0, off, s[60:63], 0 offset:92 ; 4-byte Folded Spill
	s_nop 0
	buffer_store_dword v1, off, s[60:63], 0 offset:96 ; 4-byte Folded Spill
	buffer_store_dword v2, off, s[60:63], 0 offset:104 ; 4-byte Folded Spill
	s_nop 0
	buffer_store_dword v3, off, s[60:63], 0 offset:108 ; 4-byte Folded Spill
	;; [unrolled: 3-line block ×6, first 2 shown]
	v_mul_f64 v[12:13], v[187:188], s[34:35]
	v_mul_f64 v[14:15], v[175:176], s[34:35]
	;; [unrolled: 1-line block ×6, first 2 shown]
	buffer_store_dword v12, off, s[60:63], 0 offset:136 ; 4-byte Folded Spill
	s_nop 0
	buffer_store_dword v13, off, s[60:63], 0 offset:140 ; 4-byte Folded Spill
	buffer_store_dword v14, off, s[60:63], 0 offset:152 ; 4-byte Folded Spill
	s_nop 0
	buffer_store_dword v15, off, s[60:63], 0 offset:156 ; 4-byte Folded Spill
	buffer_store_dword v16, off, s[60:63], 0 offset:176 ; 4-byte Folded Spill
	s_nop 0
	buffer_store_dword v17, off, s[60:63], 0 offset:180 ; 4-byte Folded Spill
	buffer_store_dword v18, off, s[60:63], 0 offset:256 ; 4-byte Folded Spill
	s_nop 0
	buffer_store_dword v19, off, s[60:63], 0 offset:260 ; 4-byte Folded Spill
	buffer_store_dword v20, off, s[60:63], 0 offset:288 ; 4-byte Folded Spill
	s_nop 0
	buffer_store_dword v21, off, s[60:63], 0 offset:292 ; 4-byte Folded Spill
	buffer_store_dword v22, off, s[60:63], 0 offset:344 ; 4-byte Folded Spill
	s_nop 0
	buffer_store_dword v23, off, s[60:63], 0 offset:348 ; 4-byte Folded Spill
	v_add_f64 v[114:115], v[84:85], v[76:77]
	v_add_f64 v[116:117], v[86:87], v[78:79]
	s_mov_b32 s4, 0x370991
	s_mov_b32 s22, 0x75d4884
	;; [unrolled: 1-line block ×6, first 2 shown]
	v_add_f64 v[138:139], v[88:89], v[72:73]
	v_add_f64 v[142:143], v[90:91], v[74:75]
	s_mov_b32 s10, 0x3259b75e
	s_mov_b32 s18, 0x6ed5f1bb
	;; [unrolled: 1-line block ×4, first 2 shown]
	v_add_f64 v[211:212], v[94:95], -v[70:71]
	v_add_f64 v[203:204], v[92:93], -v[68:69]
	s_mov_b32 s42, 0xacd6c6b4
	s_mov_b32 s43, 0xbfc7851a
	;; [unrolled: 1-line block ×4, first 2 shown]
	v_add_f64 v[152:153], v[92:93], v[68:69]
	v_add_f64 v[158:159], v[94:95], v[70:71]
	v_add_f64 v[245:246], v[98:99], -v[66:67]
	v_add_f64 v[243:244], v[96:97], -v[64:65]
	s_mov_b32 s24, 0x7faef3
	s_mov_b32 s25, 0xbfef7484
	;; [unrolled: 1-line block ×6, first 2 shown]
	v_mul_f64 v[24:25], v[245:246], s[36:37]
	v_mul_f64 v[26:27], v[243:244], s[36:37]
	v_add_f64 v[169:170], v[96:97], v[64:65]
	v_add_f64 v[171:172], v[98:99], v[66:67]
	s_mov_b32 s16, 0xc61f0d01
	s_mov_b32 s17, 0xbfd183b1
	v_add_f64 v[104:105], v[82:83], -v[62:63]
	v_add_f64 v[253:254], v[80:81], -v[60:61]
	s_mov_b32 s38, 0x4363dd80
	s_mov_b32 s39, 0xbfe0d888
	;; [unrolled: 1-line block ×4, first 2 shown]
	v_add_f64 v[183:184], v[80:81], v[60:61]
	v_add_f64 v[185:186], v[82:83], v[62:63]
	s_mov_b32 s20, 0x910ea3b9
	s_mov_b32 s21, 0xbfeb34fa
	v_add_f64 v[197:198], v[44:45], v[56:57]
	v_add_f64 v[199:200], v[46:47], v[58:59]
	;; [unrolled: 1-line block ×4, first 2 shown]
	s_mov_b32 s45, 0x3feca52d
	s_mov_b32 s44, s40
	v_add_f64 v[221:222], v[40:41], v[48:49]
	v_add_f64 v[223:224], v[42:43], v[50:51]
	s_mov_b32 s47, 0x3fd71e95
	s_mov_b32 s46, s26
	v_mul_f64 v[106:107], v[30:31], s[36:37]
	s_mov_b32 s55, 0x3fe9895b
	s_mov_b32 s54, s30
	v_fma_f64 v[0:1], v[114:115], s[4:5], v[0:1]
	v_fma_f64 v[2:3], v[116:117], s[4:5], -v[2:3]
	v_fma_f64 v[4:5], v[114:115], s[22:23], v[4:5]
	v_fma_f64 v[6:7], v[116:117], s[22:23], -v[6:7]
	;; [unrolled: 2-line block ×3, first 2 shown]
	v_mul_f64 v[126:127], v[28:29], s[28:29]
	v_mul_f64 v[128:129], v[175:176], s[52:53]
	v_add_f64 v[0:1], v[32:33], v[0:1]
	v_add_f64 v[2:3], v[34:35], v[2:3]
	;; [unrolled: 1-line block ×6, first 2 shown]
	v_fma_f64 v[12:13], v[138:139], s[22:23], v[12:13]
	v_fma_f64 v[14:15], v[142:143], s[22:23], -v[14:15]
	v_fma_f64 v[16:17], v[138:139], s[10:11], v[16:17]
	v_fma_f64 v[18:19], v[142:143], s[10:11], -v[18:19]
	;; [unrolled: 2-line block ×3, first 2 shown]
	v_mul_f64 v[130:131], v[243:244], s[40:41]
	v_mul_f64 v[134:135], v[253:254], s[42:43]
	v_add_f64 v[0:1], v[12:13], v[0:1]
	v_add_f64 v[2:3], v[14:15], v[2:3]
	;; [unrolled: 1-line block ×6, first 2 shown]
	v_mul_f64 v[12:13], v[211:212], s[40:41]
	v_mul_f64 v[14:15], v[203:204], s[40:41]
	;; [unrolled: 1-line block ×6, first 2 shown]
	buffer_store_dword v12, off, s[60:63], 0 offset:200 ; 4-byte Folded Spill
	s_nop 0
	buffer_store_dword v13, off, s[60:63], 0 offset:204 ; 4-byte Folded Spill
	buffer_store_dword v14, off, s[60:63], 0 offset:216 ; 4-byte Folded Spill
	s_nop 0
	buffer_store_dword v15, off, s[60:63], 0 offset:220 ; 4-byte Folded Spill
	buffer_store_dword v16, off, s[60:63], 0 offset:232 ; 4-byte Folded Spill
	s_nop 0
	buffer_store_dword v17, off, s[60:63], 0 offset:236 ; 4-byte Folded Spill
	buffer_store_dword v18, off, s[60:63], 0 offset:304 ; 4-byte Folded Spill
	s_nop 0
	buffer_store_dword v19, off, s[60:63], 0 offset:308 ; 4-byte Folded Spill
	buffer_store_dword v20, off, s[60:63], 0 offset:336 ; 4-byte Folded Spill
	s_nop 0
	buffer_store_dword v21, off, s[60:63], 0 offset:340 ; 4-byte Folded Spill
	buffer_store_dword v22, off, s[60:63], 0 offset:392 ; 4-byte Folded Spill
	s_nop 0
	buffer_store_dword v23, off, s[60:63], 0 offset:396 ; 4-byte Folded Spill
	buffer_store_dword v24, off, s[60:63], 0 offset:272 ; 4-byte Folded Spill
	s_nop 0
	buffer_store_dword v25, off, s[60:63], 0 offset:276 ; 4-byte Folded Spill
	buffer_store_dword v26, off, s[60:63], 0 offset:280 ; 4-byte Folded Spill
	s_nop 0
	buffer_store_dword v27, off, s[60:63], 0 offset:284 ; 4-byte Folded Spill
	s_mov_b32 s51, 0x3fe58eea
	s_mov_b32 s50, s34
	v_mul_f64 v[108:109], v[104:105], s[50:51]
	v_mul_f64 v[110:111], v[253:254], s[50:51]
	;; [unrolled: 1-line block ×24, first 2 shown]
	v_fma_f64 v[12:13], v[152:153], s[8:9], v[12:13]
	v_fma_f64 v[14:15], v[158:159], s[8:9], -v[14:15]
	v_fma_f64 v[16:17], v[152:153], s[18:19], v[16:17]
	v_fma_f64 v[18:19], v[158:159], s[18:19], -v[18:19]
	;; [unrolled: 2-line block ×3, first 2 shown]
	v_add_f64 v[0:1], v[12:13], v[0:1]
	v_add_f64 v[2:3], v[14:15], v[2:3]
	;; [unrolled: 1-line block ×6, first 2 shown]
	v_mul_f64 v[16:17], v[245:246], s[42:43]
	v_mul_f64 v[18:19], v[243:244], s[42:43]
	;; [unrolled: 1-line block ×4, first 2 shown]
	buffer_store_dword v16, off, s[60:63], 0 offset:296 ; 4-byte Folded Spill
	s_nop 0
	buffer_store_dword v17, off, s[60:63], 0 offset:300 ; 4-byte Folded Spill
	buffer_store_dword v18, off, s[60:63], 0 offset:352 ; 4-byte Folded Spill
	s_nop 0
	buffer_store_dword v19, off, s[60:63], 0 offset:356 ; 4-byte Folded Spill
	;; [unrolled: 3-line block ×4, first 2 shown]
	v_fma_f64 v[12:13], v[169:170], s[10:11], v[24:25]
	v_fma_f64 v[14:15], v[171:172], s[10:11], -v[26:27]
	v_mul_f64 v[24:25], v[104:105], s[52:53]
	v_mul_f64 v[26:27], v[253:254], s[52:53]
	v_add_f64 v[0:1], v[12:13], v[0:1]
	v_add_f64 v[2:3], v[14:15], v[2:3]
	v_fma_f64 v[12:13], v[169:170], s[24:25], v[16:17]
	v_fma_f64 v[14:15], v[171:172], s[24:25], -v[18:19]
	v_fma_f64 v[16:17], v[169:170], s[16:17], v[20:21]
	v_fma_f64 v[18:19], v[171:172], s[16:17], -v[22:23]
	v_mul_f64 v[20:21], v[104:105], s[28:29]
	v_mul_f64 v[22:23], v[253:254], s[28:29]
	buffer_store_dword v20, off, s[60:63], 0 offset:312 ; 4-byte Folded Spill
	s_nop 0
	buffer_store_dword v21, off, s[60:63], 0 offset:316 ; 4-byte Folded Spill
	v_add_f64 v[8:9], v[16:17], v[8:9]
	v_add_f64 v[10:11], v[18:19], v[10:11]
	v_add_f64 v[16:17], v[46:47], -v[58:59]
	v_add_f64 v[18:19], v[44:45], -v[56:57]
	buffer_store_dword v22, off, s[60:63], 0 offset:320 ; 4-byte Folded Spill
	s_nop 0
	buffer_store_dword v23, off, s[60:63], 0 offset:324 ; 4-byte Folded Spill
	buffer_store_dword v24, off, s[60:63], 0 offset:328 ; 4-byte Folded Spill
	s_nop 0
	buffer_store_dword v25, off, s[60:63], 0 offset:332 ; 4-byte Folded Spill
	;; [unrolled: 3-line block ×5, first 2 shown]
	v_add_f64 v[4:5], v[12:13], v[4:5]
	v_mul_f64 v[100:101], v[16:17], s[30:31]
	v_mul_f64 v[102:103], v[18:19], s[30:31]
	buffer_store_dword v100, off, s[60:63], 0 offset:360 ; 4-byte Folded Spill
	s_nop 0
	buffer_store_dword v101, off, s[60:63], 0 offset:364 ; 4-byte Folded Spill
	buffer_store_dword v102, off, s[60:63], 0 offset:368 ; 4-byte Folded Spill
	s_nop 0
	buffer_store_dword v103, off, s[60:63], 0 offset:372 ; 4-byte Folded Spill
	v_add_f64 v[6:7], v[14:15], v[6:7]
	v_mul_f64 v[161:162], v[16:17], s[34:35]
	v_mul_f64 v[189:190], v[18:19], s[34:35]
	;; [unrolled: 1-line block ×4, first 2 shown]
	v_fma_f64 v[12:13], v[183:184], s[16:17], v[20:21]
	v_fma_f64 v[14:15], v[185:186], s[16:17], -v[22:23]
	v_fma_f64 v[20:21], v[183:184], s[20:21], v[24:25]
	v_fma_f64 v[22:23], v[185:186], s[20:21], -v[26:27]
	;; [unrolled: 2-line block ×3, first 2 shown]
	v_add_f64 v[0:1], v[12:13], v[0:1]
	v_add_f64 v[2:3], v[14:15], v[2:3]
	;; [unrolled: 1-line block ×4, first 2 shown]
	v_mul_f64 v[20:21], v[16:17], s[48:49]
	v_mul_f64 v[22:23], v[18:19], s[48:49]
	v_add_f64 v[8:9], v[24:25], v[8:9]
	v_fma_f64 v[12:13], v[197:198], s[18:19], v[100:101]
	v_fma_f64 v[14:15], v[199:200], s[18:19], -v[102:103]
	v_add_f64 v[10:11], v[26:27], v[10:11]
	v_mul_f64 v[24:25], v[16:17], s[26:27]
	v_mul_f64 v[26:27], v[18:19], s[26:27]
	buffer_store_dword v20, off, s[60:63], 0 offset:376 ; 4-byte Folded Spill
	s_nop 0
	buffer_store_dword v21, off, s[60:63], 0 offset:380 ; 4-byte Folded Spill
	buffer_store_dword v22, off, s[60:63], 0 offset:432 ; 4-byte Folded Spill
	s_nop 0
	buffer_store_dword v23, off, s[60:63], 0 offset:436 ; 4-byte Folded Spill
	;; [unrolled: 3-line block ×3, first 2 shown]
	v_add_f64 v[0:1], v[12:13], v[0:1]
	v_add_f64 v[2:3], v[14:15], v[2:3]
	v_add_f64 v[12:13], v[38:39], -v[54:55]
	v_add_f64 v[14:15], v[36:37], -v[52:53]
	buffer_store_dword v26, off, s[60:63], 0 offset:536 ; 4-byte Folded Spill
	s_nop 0
	buffer_store_dword v27, off, s[60:63], 0 offset:540 ; 4-byte Folded Spill
	v_mul_f64 v[100:101], v[12:13], s[38:39]
	v_mul_f64 v[102:103], v[14:15], s[38:39]
	buffer_store_dword v100, off, s[60:63], 0 offset:408 ; 4-byte Folded Spill
	s_nop 0
	buffer_store_dword v101, off, s[60:63], 0 offset:412 ; 4-byte Folded Spill
	buffer_store_dword v102, off, s[60:63], 0 offset:416 ; 4-byte Folded Spill
	s_nop 0
	buffer_store_dword v103, off, s[60:63], 0 offset:420 ; 4-byte Folded Spill
	v_mul_f64 v[108:109], v[12:13], s[44:45]
	v_mul_f64 v[110:111], v[14:15], s[44:45]
	buffer_store_dword v108, off, s[60:63], 0 offset:464 ; 4-byte Folded Spill
	s_nop 0
	buffer_store_dword v109, off, s[60:63], 0 offset:468 ; 4-byte Folded Spill
	buffer_store_dword v110, off, s[60:63], 0 offset:488 ; 4-byte Folded Spill
	s_nop 0
	buffer_store_dword v111, off, s[60:63], 0 offset:492 ; 4-byte Folded Spill
	v_mul_f64 v[118:119], v[14:15], s[36:37]
	v_mul_f64 v[122:123], v[12:13], s[26:27]
	;; [unrolled: 1-line block ×7, first 2 shown]
	v_fma_f64 v[20:21], v[197:198], s[16:17], v[20:21]
	v_fma_f64 v[22:23], v[199:200], s[16:17], -v[22:23]
	v_fma_f64 v[24:25], v[197:198], s[4:5], v[24:25]
	v_add_f64 v[4:5], v[20:21], v[4:5]
	v_add_f64 v[6:7], v[22:23], v[6:7]
	v_add_f64 v[20:21], v[42:43], -v[50:51]
	v_fma_f64 v[26:27], v[199:200], s[4:5], -v[26:27]
	v_add_f64 v[22:23], v[40:41], -v[48:49]
	v_add_f64 v[8:9], v[24:25], v[8:9]
	v_mul_f64 v[124:125], v[20:21], s[30:31]
	v_add_f64 v[10:11], v[26:27], v[10:11]
	v_mul_f64 v[112:113], v[22:23], s[46:47]
	v_mul_f64 v[144:145], v[22:23], s[30:31]
	;; [unrolled: 1-line block ×5, first 2 shown]
	v_fma_f64 v[24:25], v[205:206], s[20:21], v[100:101]
	v_fma_f64 v[26:27], v[207:208], s[20:21], -v[102:103]
	v_mul_f64 v[100:101], v[20:21], s[42:43]
	v_mul_f64 v[102:103], v[22:23], s[42:43]
	buffer_store_dword v100, off, s[60:63], 0 offset:448 ; 4-byte Folded Spill
	s_nop 0
	buffer_store_dword v101, off, s[60:63], 0 offset:452 ; 4-byte Folded Spill
	buffer_store_dword v102, off, s[60:63], 0 offset:456 ; 4-byte Folded Spill
	s_nop 0
	buffer_store_dword v103, off, s[60:63], 0 offset:460 ; 4-byte Folded Spill
	v_add_f64 v[0:1], v[24:25], v[0:1]
	v_add_f64 v[2:3], v[26:27], v[2:3]
	v_fma_f64 v[26:27], v[207:208], s[8:9], -v[110:111]
	v_mul_f64 v[110:111], v[12:13], s[36:37]
	v_fma_f64 v[24:25], v[205:206], s[8:9], v[108:109]
	v_mul_f64 v[108:109], v[20:21], s[46:47]
	buffer_store_dword v110, off, s[60:63], 0 offset:496 ; 4-byte Folded Spill
	s_nop 0
	buffer_store_dword v111, off, s[60:63], 0 offset:500 ; 4-byte Folded Spill
	buffer_store_dword v118, off, s[60:63], 0 offset:544 ; 4-byte Folded Spill
	s_nop 0
	buffer_store_dword v119, off, s[60:63], 0 offset:548 ; 4-byte Folded Spill
	v_add_f64 v[4:5], v[24:25], v[4:5]
	v_add_f64 v[6:7], v[26:27], v[6:7]
	v_mul_f64 v[241:242], v[22:23], s[28:29]
	v_fma_f64 v[100:101], v[221:222], s[24:25], v[100:101]
	v_fma_f64 v[102:103], v[223:224], s[24:25], -v[102:103]
	v_add_f64 v[0:1], v[100:101], v[0:1]
	v_add_f64 v[2:3], v[102:103], v[2:3]
	buffer_store_dword v0, off, s[60:63], 0 offset:12 ; 4-byte Folded Spill
	s_nop 0
	buffer_store_dword v1, off, s[60:63], 0 offset:16 ; 4-byte Folded Spill
	buffer_store_dword v2, off, s[60:63], 0 offset:20 ; 4-byte Folded Spill
	;; [unrolled: 1-line block ×4, first 2 shown]
	s_nop 0
	buffer_store_dword v109, off, s[60:63], 0 offset:476 ; 4-byte Folded Spill
	buffer_store_dword v112, off, s[60:63], 0 offset:504 ; 4-byte Folded Spill
	s_nop 0
	buffer_store_dword v113, off, s[60:63], 0 offset:508 ; 4-byte Folded Spill
	v_mul_f64 v[102:103], v[22:23], s[38:39]
	v_mul_f64 v[100:101], v[20:21], s[38:39]
	buffer_store_dword v106, off, s[60:63], 0 offset:264 ; 4-byte Folded Spill
	s_nop 0
	buffer_store_dword v107, off, s[60:63], 0 offset:268 ; 4-byte Folded Spill
	v_fma_f64 v[24:25], v[205:206], s[10:11], v[110:111]
	v_fma_f64 v[26:27], v[207:208], s[10:11], -v[118:119]
	v_mul_f64 v[110:111], v[245:246], s[40:41]
	v_mul_f64 v[118:119], v[104:105], s[42:43]
	v_add_f64 v[8:9], v[24:25], v[8:9]
	v_add_f64 v[10:11], v[26:27], v[10:11]
	v_fma_f64 v[0:1], v[221:222], s[4:5], v[108:109]
	v_fma_f64 v[2:3], v[223:224], s[4:5], -v[112:113]
	v_mul_f64 v[108:109], v[187:188], s[52:53]
	v_mul_f64 v[112:113], v[211:212], s[50:51]
	v_fma_f64 v[24:25], v[114:115], s[10:11], v[106:107]
	v_mul_f64 v[106:107], v[30:31], s[28:29]
	v_add_f64 v[0:1], v[0:1], v[4:5]
	v_add_f64 v[2:3], v[2:3], v[6:7]
	buffer_store_dword v0, off, s[60:63], 0 offset:28 ; 4-byte Folded Spill
	s_nop 0
	buffer_store_dword v1, off, s[60:63], 0 offset:32 ; 4-byte Folded Spill
	buffer_store_dword v2, off, s[60:63], 0 offset:36 ; 4-byte Folded Spill
	;; [unrolled: 1-line block ×4, first 2 shown]
	s_nop 0
	buffer_store_dword v101, off, s[60:63], 0 offset:516 ; 4-byte Folded Spill
	buffer_store_dword v102, off, s[60:63], 0 offset:528 ; 4-byte Folded Spill
	s_nop 0
	buffer_store_dword v103, off, s[60:63], 0 offset:532 ; 4-byte Folded Spill
	v_mul_f64 v[6:7], v[187:188], s[42:43]
	buffer_store_dword v6, off, s[60:63], 0 offset:560 ; 4-byte Folded Spill
	s_nop 0
	buffer_store_dword v7, off, s[60:63], 0 offset:564 ; 4-byte Folded Spill
	v_add_f64 v[4:5], v[32:33], v[24:25]
	v_mul_f64 v[187:188], v[187:188], s[46:47]
	v_fma_f64 v[0:1], v[221:222], s[20:21], v[100:101]
	v_fma_f64 v[2:3], v[223:224], s[20:21], -v[102:103]
	v_mul_f64 v[100:101], v[203:204], s[38:39]
	v_mul_f64 v[102:103], v[243:244], s[50:51]
	v_add_f64 v[24:25], v[0:1], v[8:9]
	v_add_f64 v[26:27], v[2:3], v[10:11]
	v_fma_f64 v[0:1], v[138:139], s[24:25], v[6:7]
	v_mul_f64 v[2:3], v[28:29], s[36:37]
	buffer_store_dword v2, off, s[60:63], 0 offset:600 ; 4-byte Folded Spill
	s_nop 0
	buffer_store_dword v3, off, s[60:63], 0 offset:604 ; 4-byte Folded Spill
	v_add_f64 v[0:1], v[0:1], v[4:5]
	v_mul_f64 v[4:5], v[175:176], s[42:43]
	buffer_store_dword v4, off, s[60:63], 0 offset:608 ; 4-byte Folded Spill
	s_nop 0
	buffer_store_dword v5, off, s[60:63], 0 offset:612 ; 4-byte Folded Spill
	v_mul_f64 v[175:176], v[245:246], s[50:51]
	v_fma_f64 v[2:3], v[116:117], s[10:11], -v[2:3]
	v_add_f64 v[2:3], v[34:35], v[2:3]
	v_fma_f64 v[4:5], v[142:143], s[24:25], -v[4:5]
	v_add_f64 v[2:3], v[4:5], v[2:3]
	v_mul_f64 v[4:5], v[211:212], s[48:49]
	buffer_store_dword v4, off, s[60:63], 0 offset:584 ; 4-byte Folded Spill
	s_nop 0
	buffer_store_dword v5, off, s[60:63], 0 offset:588 ; 4-byte Folded Spill
	v_mul_f64 v[211:212], v[211:212], s[38:39]
	v_fma_f64 v[4:5], v[152:153], s[16:17], v[4:5]
	v_add_f64 v[0:1], v[4:5], v[0:1]
	v_mul_f64 v[4:5], v[203:204], s[48:49]
	buffer_store_dword v4, off, s[60:63], 0 offset:632 ; 4-byte Folded Spill
	s_nop 0
	buffer_store_dword v5, off, s[60:63], 0 offset:636 ; 4-byte Folded Spill
	v_mul_f64 v[203:204], v[104:105], s[30:31]
	v_fma_f64 v[4:5], v[158:159], s[16:17], -v[4:5]
	v_add_f64 v[2:3], v[4:5], v[2:3]
	v_mul_f64 v[4:5], v[245:246], s[46:47]
	buffer_store_dword v4, off, s[60:63], 0 offset:576 ; 4-byte Folded Spill
	s_nop 0
	buffer_store_dword v5, off, s[60:63], 0 offset:580 ; 4-byte Folded Spill
	v_mul_f64 v[245:246], v[12:13], s[28:29]
	v_fma_f64 v[4:5], v[169:170], s[4:5], v[4:5]
	v_add_f64 v[0:1], v[4:5], v[0:1]
	v_mul_f64 v[4:5], v[243:244], s[46:47]
	buffer_store_dword v4, off, s[60:63], 0 offset:624 ; 4-byte Folded Spill
	s_nop 0
	buffer_store_dword v5, off, s[60:63], 0 offset:628 ; 4-byte Folded Spill
	v_mul_f64 v[243:244], v[16:17], s[44:45]
	v_fma_f64 v[4:5], v[171:172], s[4:5], -v[4:5]
	v_add_f64 v[2:3], v[4:5], v[2:3]
	v_mul_f64 v[4:5], v[104:105], s[40:41]
	buffer_store_dword v4, off, s[60:63], 0 offset:592 ; 4-byte Folded Spill
	s_nop 0
	buffer_store_dword v5, off, s[60:63], 0 offset:596 ; 4-byte Folded Spill
	v_fma_f64 v[4:5], v[183:184], s[8:9], v[4:5]
	v_add_f64 v[0:1], v[4:5], v[0:1]
	v_mul_f64 v[4:5], v[253:254], s[40:41]
	buffer_store_dword v4, off, s[60:63], 0 offset:640 ; 4-byte Folded Spill
	s_nop 0
	buffer_store_dword v5, off, s[60:63], 0 offset:644 ; 4-byte Folded Spill
	s_mov_b32 s41, 0x3fefdd0d
	s_mov_b32 s40, s36
	v_mul_f64 v[120:121], v[16:17], s[40:41]
	v_mul_f64 v[136:137], v[18:19], s[40:41]
	;; [unrolled: 1-line block ×6, first 2 shown]
	v_fma_f64 v[4:5], v[185:186], s[8:9], -v[4:5]
	v_add_f64 v[2:3], v[4:5], v[2:3]
	v_mul_f64 v[4:5], v[16:17], s[38:39]
	buffer_store_dword v4, off, s[60:63], 0 offset:616 ; 4-byte Folded Spill
	s_nop 0
	buffer_store_dword v5, off, s[60:63], 0 offset:620 ; 4-byte Folded Spill
	v_fma_f64 v[4:5], v[197:198], s[20:21], v[4:5]
	v_add_f64 v[0:1], v[4:5], v[0:1]
	v_mul_f64 v[4:5], v[18:19], s[38:39]
	buffer_store_dword v4, off, s[60:63], 0 offset:648 ; 4-byte Folded Spill
	s_nop 0
	buffer_store_dword v5, off, s[60:63], 0 offset:652 ; 4-byte Folded Spill
	v_fma_f64 v[4:5], v[199:200], s[20:21], -v[4:5]
	v_add_f64 v[2:3], v[4:5], v[2:3]
	v_mul_f64 v[4:5], v[12:13], s[54:55]
	buffer_store_dword v4, off, s[60:63], 0 offset:568 ; 4-byte Folded Spill
	s_nop 0
	buffer_store_dword v5, off, s[60:63], 0 offset:572 ; 4-byte Folded Spill
	v_fma_f64 v[4:5], v[205:206], s[18:19], v[4:5]
	v_add_f64 v[0:1], v[4:5], v[0:1]
	v_mul_f64 v[4:5], v[14:15], s[54:55]
	buffer_store_dword v4, off, s[60:63], 0 offset:656 ; 4-byte Folded Spill
	s_nop 0
	buffer_store_dword v5, off, s[60:63], 0 offset:660 ; 4-byte Folded Spill
	;; [unrolled: 12-line block ×3, first 2 shown]
	v_fma_f64 v[4:5], v[142:143], s[20:21], -v[128:129]
	v_fma_f64 v[0:1], v[223:224], s[22:23], -v[0:1]
	v_add_f64 v[10:11], v[0:1], v[2:3]
	v_fma_f64 v[0:1], v[114:115], s[16:17], v[106:107]
	v_fma_f64 v[2:3], v[138:139], s[20:21], v[108:109]
	v_add_f64 v[0:1], v[32:33], v[0:1]
	v_add_f64 v[0:1], v[2:3], v[0:1]
	v_fma_f64 v[2:3], v[116:117], s[16:17], -v[126:127]
	v_add_f64 v[2:3], v[34:35], v[2:3]
	v_add_f64 v[2:3], v[4:5], v[2:3]
	v_fma_f64 v[4:5], v[152:153], s[22:23], v[112:113]
	v_add_f64 v[0:1], v[4:5], v[0:1]
	v_fma_f64 v[4:5], v[158:159], s[22:23], -v[132:133]
	v_add_f64 v[2:3], v[4:5], v[2:3]
	v_fma_f64 v[4:5], v[169:170], s[8:9], v[110:111]
	v_add_f64 v[0:1], v[4:5], v[0:1]
	v_fma_f64 v[4:5], v[171:172], s[8:9], -v[130:131]
	v_add_f64 v[2:3], v[4:5], v[2:3]
	v_fma_f64 v[4:5], v[183:184], s[24:25], v[118:119]
	v_add_f64 v[0:1], v[4:5], v[0:1]
	v_fma_f64 v[4:5], v[185:186], s[24:25], -v[134:135]
	v_add_f64 v[2:3], v[4:5], v[2:3]
	v_fma_f64 v[4:5], v[197:198], s[10:11], v[120:121]
	v_add_f64 v[0:1], v[4:5], v[0:1]
	v_fma_f64 v[4:5], v[199:200], s[10:11], -v[136:137]
	v_add_f64 v[2:3], v[4:5], v[2:3]
	v_fma_f64 v[4:5], v[205:206], s[4:5], v[122:123]
	v_add_f64 v[0:1], v[4:5], v[0:1]
	v_fma_f64 v[4:5], v[207:208], s[4:5], -v[140:141]
	v_add_f64 v[2:3], v[4:5], v[2:3]
	v_fma_f64 v[4:5], v[221:222], s[18:19], v[124:125]
	v_add_f64 v[4:5], v[4:5], v[0:1]
	v_fma_f64 v[0:1], v[223:224], s[18:19], -v[144:145]
	v_add_f64 v[6:7], v[0:1], v[2:3]
	v_fma_f64 v[0:1], v[114:115], s[18:19], v[146:147]
	v_fma_f64 v[2:3], v[138:139], s[16:17], v[148:149]
	buffer_store_dword v4, off, s[60:63], 0 offset:44 ; 4-byte Folded Spill
	s_nop 0
	buffer_store_dword v5, off, s[60:63], 0 offset:48 ; 4-byte Folded Spill
	buffer_store_dword v6, off, s[60:63], 0 offset:52 ; 4-byte Folded Spill
	buffer_store_dword v7, off, s[60:63], 0 offset:56 ; 4-byte Folded Spill
	v_add_f64 v[0:1], v[32:33], v[0:1]
	v_fma_f64 v[4:5], v[142:143], s[16:17], -v[173:174]
	v_add_f64 v[0:1], v[2:3], v[0:1]
	v_fma_f64 v[2:3], v[116:117], s[18:19], -v[167:168]
	v_add_f64 v[2:3], v[34:35], v[2:3]
	v_add_f64 v[2:3], v[4:5], v[2:3]
	v_fma_f64 v[4:5], v[152:153], s[4:5], v[154:155]
	v_add_f64 v[0:1], v[4:5], v[0:1]
	v_fma_f64 v[4:5], v[158:159], s[4:5], -v[179:180]
	v_add_f64 v[2:3], v[4:5], v[2:3]
	v_fma_f64 v[4:5], v[169:170], s[20:21], v[150:151]
	v_add_f64 v[0:1], v[4:5], v[0:1]
	v_fma_f64 v[4:5], v[171:172], s[20:21], -v[177:178]
	v_add_f64 v[2:3], v[4:5], v[2:3]
	v_fma_f64 v[4:5], v[183:184], s[10:11], v[156:157]
	v_add_f64 v[0:1], v[4:5], v[0:1]
	v_fma_f64 v[4:5], v[185:186], s[10:11], -v[181:182]
	v_add_f64 v[2:3], v[4:5], v[2:3]
	v_fma_f64 v[4:5], v[197:198], s[22:23], v[161:162]
	v_add_f64 v[0:1], v[4:5], v[0:1]
	v_fma_f64 v[4:5], v[199:200], s[22:23], -v[189:190]
	v_add_f64 v[2:3], v[4:5], v[2:3]
	v_fma_f64 v[4:5], v[205:206], s[24:25], v[163:164]
	v_add_f64 v[0:1], v[4:5], v[0:1]
	v_fma_f64 v[4:5], v[207:208], s[24:25], -v[191:192]
	v_add_f64 v[2:3], v[4:5], v[2:3]
	v_fma_f64 v[4:5], v[221:222], s[8:9], v[165:166]
	v_add_f64 v[4:5], v[4:5], v[0:1]
	v_fma_f64 v[0:1], v[223:224], s[8:9], -v[193:194]
	v_add_f64 v[6:7], v[0:1], v[2:3]
	v_fma_f64 v[0:1], v[114:115], s[20:21], v[195:196]
	v_fma_f64 v[2:3], v[138:139], s[8:9], v[201:202]
	buffer_store_dword v4, off, s[60:63], 0 offset:60 ; 4-byte Folded Spill
	s_nop 0
	buffer_store_dword v5, off, s[60:63], 0 offset:64 ; 4-byte Folded Spill
	buffer_store_dword v6, off, s[60:63], 0 offset:68 ; 4-byte Folded Spill
	buffer_store_dword v7, off, s[60:63], 0 offset:72 ; 4-byte Folded Spill
	v_add_f64 v[0:1], v[32:33], v[0:1]
	v_fma_f64 v[4:5], v[142:143], s[8:9], -v[229:230]
	;; [unrolled: 37-line block ×3, first 2 shown]
	s_waitcnt vmcnt(0)
	s_barrier
	v_add_f64 v[0:1], v[2:3], v[0:1]
	v_fma_f64 v[2:3], v[116:117], s[24:25], -v[251:252]
	v_add_f64 v[2:3], v[34:35], v[2:3]
	v_add_f64 v[2:3], v[4:5], v[2:3]
	v_fma_f64 v[4:5], v[152:153], s[20:21], v[211:212]
	v_add_f64 v[0:1], v[4:5], v[0:1]
	v_fma_f64 v[4:5], v[158:159], s[20:21], -v[100:101]
	v_add_f64 v[2:3], v[4:5], v[2:3]
	v_fma_f64 v[4:5], v[169:170], s[22:23], v[175:176]
	v_add_f64 v[0:1], v[4:5], v[0:1]
	v_fma_f64 v[4:5], v[171:172], s[22:23], -v[102:103]
	;; [unrolled: 4-line block ×3, first 2 shown]
	v_add_f64 v[2:3], v[4:5], v[2:3]
	v_fma_f64 v[4:5], v[197:198], s[8:9], v[243:244]
	v_add_f64 v[4:5], v[4:5], v[0:1]
	v_mul_f64 v[0:1], v[18:19], s[44:45]
	v_fma_f64 v[6:7], v[199:200], s[8:9], -v[0:1]
	v_add_f64 v[6:7], v[6:7], v[2:3]
	v_fma_f64 v[2:3], v[205:206], s[16:17], v[245:246]
	v_add_f64 v[12:13], v[2:3], v[4:5]
	v_mul_f64 v[2:3], v[14:15], s[28:29]
	v_fma_f64 v[14:15], v[221:222], s[10:11], v[253:254]
	v_fma_f64 v[4:5], v[207:208], s[16:17], -v[2:3]
	v_add_f64 v[28:29], v[14:15], v[12:13]
	v_add_f64 v[6:7], v[4:5], v[6:7]
	v_mul_f64 v[4:5], v[22:23], s[40:41]
	v_fma_f64 v[12:13], v[223:224], s[10:11], -v[4:5]
	v_add_f64 v[30:31], v[12:13], v[6:7]
	v_mul_lo_u16_e32 v6, 17, v160
	buffer_store_dword v6, off, s[60:63], 0 offset:100 ; 4-byte Folded Spill
	s_and_saveexec_b64 s[26:27], s[0:1]
	s_cbranch_execz .LBB0_7
; %bb.6:
	v_mul_f64 v[22:23], v[116:117], s[24:25]
	v_add_f64 v[14:15], v[32:33], v[84:85]
	v_mul_f64 v[84:85], v[142:143], s[4:5]
	v_add_f64 v[12:13], v[34:35], v[86:87]
	v_mul_f64 v[20:21], v[158:159], s[20:21]
	v_mul_f64 v[86:87], v[114:115], s[24:25]
	;; [unrolled: 1-line block ×4, first 2 shown]
	v_add_f64 v[22:23], v[251:252], v[22:23]
	v_add_f64 v[14:15], v[14:15], v[88:89]
	;; [unrolled: 1-line block ×3, first 2 shown]
	v_mul_f64 v[88:89], v[138:139], s[4:5]
	v_add_f64 v[20:21], v[100:101], v[20:21]
	v_add_f64 v[86:87], v[86:87], -v[247:248]
	v_add_f64 v[4:5], v[4:5], v[16:17]
	v_mul_f64 v[16:17], v[207:208], s[16:17]
	v_add_f64 v[22:23], v[34:35], v[22:23]
	v_add_f64 v[18:19], v[102:103], v[18:19]
	;; [unrolled: 1-line block ×3, first 2 shown]
	v_add_f64 v[88:89], v[88:89], -v[187:188]
	v_add_f64 v[14:15], v[14:15], v[92:93]
	buffer_load_dword v6, off, s[60:63], 0 offset:632 ; 4-byte Folded Reload
	buffer_load_dword v7, off, s[60:63], 0 offset:636 ; 4-byte Folded Reload
	v_mul_f64 v[90:91], v[138:139], s[20:21]
	v_add_f64 v[2:3], v[2:3], v[16:17]
	v_add_f64 v[22:23], v[84:85], v[22:23]
	v_mul_f64 v[84:85], v[152:153], s[20:21]
	v_mul_f64 v[16:17], v[199:200], s[8:9]
	v_add_f64 v[12:13], v[12:13], v[94:95]
	v_add_f64 v[14:15], v[14:15], v[96:97]
	v_mul_f64 v[92:93], v[142:143], s[24:25]
	v_add_f64 v[90:91], v[90:91], -v[108:109]
	v_mul_f64 v[100:101], v[138:139], s[24:25]
	v_add_f64 v[20:21], v[20:21], v[22:23]
	v_add_f64 v[22:23], v[32:33], v[86:87]
	v_add_f64 v[84:85], v[84:85], -v[211:212]
	v_mul_f64 v[86:87], v[169:170], s[22:23]
	v_add_f64 v[0:1], v[0:1], v[16:17]
	v_mul_f64 v[16:17], v[185:186], s[18:19]
	v_add_f64 v[12:13], v[12:13], v[98:99]
	;; [unrolled: 2-line block ×3, first 2 shown]
	v_add_f64 v[22:23], v[88:89], v[22:23]
	v_mul_f64 v[88:89], v[114:115], s[16:17]
	v_add_f64 v[86:87], v[86:87], -v[175:176]
	v_mul_f64 v[102:103], v[116:117], s[8:9]
	v_add_f64 v[16:17], v[104:105], v[16:17]
	v_mul_f64 v[104:105], v[142:143], s[18:19]
	v_mul_f64 v[108:109], v[199:200], s[4:5]
	;; [unrolled: 1-line block ×3, first 2 shown]
	v_add_f64 v[22:23], v[84:85], v[22:23]
	v_mul_f64 v[84:85], v[183:184], s[18:19]
	v_add_f64 v[88:89], v[88:89], -v[106:107]
	v_mul_f64 v[106:107], v[205:206], s[18:19]
	v_add_f64 v[16:17], v[16:17], v[18:19]
	v_add_f64 v[20:21], v[86:87], v[22:23]
	v_add_f64 v[84:85], v[84:85], -v[203:204]
	v_mul_f64 v[22:23], v[197:198], s[8:9]
	v_add_f64 v[88:89], v[32:33], v[88:89]
	v_add_f64 v[0:1], v[0:1], v[16:17]
	;; [unrolled: 1-line block ×3, first 2 shown]
	v_add_f64 v[22:23], v[22:23], -v[243:244]
	v_mul_f64 v[20:21], v[205:206], s[16:17]
	v_add_f64 v[0:1], v[2:3], v[0:1]
	v_add_f64 v[88:89], v[90:91], v[88:89]
	v_mul_f64 v[90:91], v[169:170], s[8:9]
	v_add_f64 v[16:17], v[22:23], v[18:19]
	v_add_f64 v[20:21], v[20:21], -v[245:246]
	v_mul_f64 v[18:19], v[221:222], s[10:11]
	v_add_f64 v[2:3], v[4:5], v[0:1]
	v_mul_f64 v[4:5], v[158:159], s[10:11]
	v_mul_f64 v[22:23], v[138:139], s[8:9]
	v_add_f64 v[90:91], v[90:91], -v[110:111]
	v_mul_f64 v[110:111], v[116:117], s[4:5]
	v_add_f64 v[16:17], v[20:21], v[16:17]
	v_add_f64 v[18:19], v[18:19], -v[253:254]
	v_mul_f64 v[20:21], v[114:115], s[20:21]
	v_add_f64 v[4:5], v[233:234], v[4:5]
	v_add_f64 v[22:23], v[22:23], -v[201:202]
	v_add_f64 v[0:1], v[18:19], v[16:17]
	v_mul_f64 v[16:17], v[116:117], s[20:21]
	v_mul_f64 v[18:19], v[142:143], s[8:9]
	v_add_f64 v[20:21], v[20:21], -v[195:196]
	v_add_f64 v[16:17], v[227:228], v[16:17]
	v_add_f64 v[18:19], v[229:230], v[18:19]
	;; [unrolled: 1-line block ×5, first 2 shown]
	v_mul_f64 v[22:23], v[169:170], s[18:19]
	v_add_f64 v[16:17], v[18:19], v[16:17]
	v_mul_f64 v[18:19], v[171:172], s[18:19]
	v_add_f64 v[22:23], v[22:23], -v[209:210]
	v_add_f64 v[4:5], v[4:5], v[16:17]
	v_add_f64 v[18:19], v[231:232], v[18:19]
	v_mul_f64 v[16:17], v[185:186], s[4:5]
	v_add_f64 v[4:5], v[18:19], v[4:5]
	v_add_f64 v[16:17], v[235:236], v[16:17]
	v_mul_f64 v[18:19], v[199:200], s[24:25]
	;; [unrolled: 3-line block ×4, first 2 shown]
	v_add_f64 v[4:5], v[16:17], v[4:5]
	v_mul_f64 v[16:17], v[152:153], s[10:11]
	v_add_f64 v[18:19], v[241:242], v[18:19]
	v_add_f64 v[16:17], v[16:17], -v[213:214]
	v_add_f64 v[86:87], v[18:19], v[4:5]
	v_mul_f64 v[18:19], v[142:143], s[16:17]
	v_add_f64 v[4:5], v[12:13], v[82:83]
	v_add_f64 v[12:13], v[14:15], v[80:81]
	v_mul_f64 v[14:15], v[158:159], s[4:5]
	v_mul_f64 v[80:81], v[116:117], s[16:17]
	;; [unrolled: 1-line block ×3, first 2 shown]
	v_add_f64 v[16:17], v[16:17], v[20:21]
	v_mul_f64 v[20:21], v[183:184], s[4:5]
	v_add_f64 v[18:19], v[173:174], v[18:19]
	v_mul_f64 v[173:174], v[223:224], s[20:21]
	v_add_f64 v[12:13], v[12:13], v[44:45]
	v_add_f64 v[14:15], v[179:180], v[14:15]
	;; [unrolled: 1-line block ×5, first 2 shown]
	v_add_f64 v[20:21], v[20:21], -v[215:216]
	v_mul_f64 v[22:23], v[197:198], s[24:25]
	v_add_f64 v[4:5], v[4:5], v[46:47]
	v_add_f64 v[12:13], v[12:13], v[36:37]
	v_mul_f64 v[128:129], v[158:159], s[8:9]
	v_add_f64 v[80:81], v[34:35], v[80:81]
	v_mul_f64 v[126:127], v[152:153], s[8:9]
	v_add_f64 v[16:17], v[20:21], v[16:17]
	v_add_f64 v[22:23], v[22:23], -v[217:218]
	v_mul_f64 v[20:21], v[205:206], s[22:23]
	v_add_f64 v[4:5], v[4:5], v[38:39]
	v_add_f64 v[12:13], v[12:13], v[40:41]
	v_add_f64 v[80:81], v[82:83], v[80:81]
	v_mul_f64 v[82:83], v[171:172], s[8:9]
	v_add_f64 v[16:17], v[22:23], v[16:17]
	v_add_f64 v[20:21], v[20:21], -v[219:220]
	v_mul_f64 v[22:23], v[221:222], s[16:17]
	v_add_f64 v[4:5], v[4:5], v[42:43]
	v_add_f64 v[12:13], v[12:13], v[48:49]
	;; [unrolled: 7-line block ×3, first 2 shown]
	v_add_f64 v[84:85], v[22:23], v[16:17]
	v_mul_f64 v[16:17], v[116:117], s[18:19]
	v_add_f64 v[20:21], v[20:21], -v[146:147]
	v_mul_f64 v[22:23], v[138:139], s[16:17]
	v_mul_f64 v[146:147], v[185:186], s[16:17]
	v_add_f64 v[4:5], v[4:5], v[54:55]
	v_add_f64 v[12:13], v[12:13], v[56:57]
	;; [unrolled: 1-line block ×4, first 2 shown]
	v_add_f64 v[22:23], v[22:23], -v[148:149]
	v_mul_f64 v[148:149], v[183:184], s[20:21]
	v_mul_f64 v[167:168], v[223:224], s[24:25]
	v_add_f64 v[4:5], v[4:5], v[58:59]
	v_add_f64 v[12:13], v[12:13], v[60:61]
	;; [unrolled: 1-line block ×4, first 2 shown]
	v_mul_f64 v[22:23], v[169:170], s[20:21]
	v_add_f64 v[4:5], v[4:5], v[62:63]
	v_add_f64 v[12:13], v[12:13], v[64:65]
	v_add_f64 v[16:17], v[18:19], v[16:17]
	v_mul_f64 v[18:19], v[171:172], s[20:21]
	v_add_f64 v[22:23], v[22:23], -v[150:151]
	v_mul_f64 v[150:151], v[185:186], s[20:21]
	v_add_f64 v[4:5], v[4:5], v[66:67]
	v_add_f64 v[12:13], v[12:13], v[68:69]
	;; [unrolled: 1-line block ×4, first 2 shown]
	v_mul_f64 v[16:17], v[185:186], s[10:11]
	v_add_f64 v[4:5], v[4:5], v[70:71]
	v_add_f64 v[12:13], v[12:13], v[72:73]
	;; [unrolled: 1-line block ×4, first 2 shown]
	v_mul_f64 v[18:19], v[199:200], s[22:23]
	v_add_f64 v[4:5], v[4:5], v[74:75]
	v_add_f64 v[14:15], v[16:17], v[14:15]
	;; [unrolled: 1-line block ×3, first 2 shown]
	v_mul_f64 v[16:17], v[207:208], s[24:25]
	v_add_f64 v[14:15], v[18:19], v[14:15]
	v_add_f64 v[16:17], v[191:192], v[16:17]
	v_mul_f64 v[18:19], v[223:224], s[8:9]
	v_add_f64 v[14:15], v[16:17], v[14:15]
	v_mul_f64 v[16:17], v[152:153], s[4:5]
	v_add_f64 v[18:19], v[193:194], v[18:19]
	v_add_f64 v[16:17], v[16:17], -v[154:155]
	v_mul_f64 v[154:155], v[199:200], s[16:17]
	v_add_f64 v[16:17], v[16:17], v[20:21]
	v_mul_f64 v[20:21], v[183:184], s[10:11]
	v_add_f64 v[16:17], v[22:23], v[16:17]
	v_add_f64 v[20:21], v[20:21], -v[156:157]
	v_mul_f64 v[22:23], v[197:198], s[22:23]
	v_mul_f64 v[156:157], v[197:198], s[4:5]
	v_add_f64 v[16:17], v[20:21], v[16:17]
	v_add_f64 v[22:23], v[22:23], -v[161:162]
	v_mul_f64 v[20:21], v[205:206], s[24:25]
	;; [unrolled: 4-line block ×3, first 2 shown]
	v_mul_f64 v[22:23], v[221:222], s[8:9]
	v_add_f64 v[16:17], v[20:21], v[16:17]
	v_mul_f64 v[20:21], v[158:159], s[22:23]
	v_add_f64 v[22:23], v[22:23], -v[165:166]
	v_mul_f64 v[165:166], v[221:222], s[24:25]
	v_add_f64 v[20:21], v[132:133], v[20:21]
	v_mul_f64 v[132:133], v[158:159], s[18:19]
	v_add_f64 v[20:21], v[20:21], v[80:81]
	;; [unrolled: 2-line block ×3, first 2 shown]
	v_add_f64 v[80:81], v[134:135], v[80:81]
	v_mul_f64 v[82:83], v[199:200], s[10:11]
	v_mul_f64 v[134:135], v[152:153], s[24:25]
	v_add_f64 v[20:21], v[80:81], v[20:21]
	v_add_f64 v[82:83], v[136:137], v[82:83]
	v_mul_f64 v[80:81], v[207:208], s[4:5]
	v_mul_f64 v[136:137], v[169:170], s[10:11]
	v_add_f64 v[20:21], v[82:83], v[20:21]
	;; [unrolled: 4-line block ×3, first 2 shown]
	v_mul_f64 v[80:81], v[152:153], s[22:23]
	v_add_f64 v[82:83], v[144:145], v[82:83]
	v_mul_f64 v[144:145], v[183:184], s[16:17]
	v_add_f64 v[80:81], v[80:81], -v[112:113]
	v_mul_f64 v[112:113], v[114:115], s[22:23]
	v_add_f64 v[80:81], v[80:81], v[88:89]
	v_mul_f64 v[88:89], v[183:184], s[24:25]
	v_add_f64 v[80:81], v[90:91], v[80:81]
	v_add_f64 v[88:89], v[88:89], -v[118:119]
	v_mul_f64 v[90:91], v[197:198], s[10:11]
	v_mul_f64 v[118:119], v[183:184], s[22:23]
	v_add_f64 v[80:81], v[88:89], v[80:81]
	v_add_f64 v[90:91], v[90:91], -v[120:121]
	v_mul_f64 v[88:89], v[205:206], s[4:5]
	;; [unrolled: 4-line block ×3, first 2 shown]
	v_mul_f64 v[122:123], v[142:143], s[10:11]
	v_mul_f64 v[142:143], v[171:172], s[24:25]
	v_add_f64 v[88:89], v[88:89], v[80:81]
	v_mul_f64 v[80:81], v[158:159], s[16:17]
	v_add_f64 v[96:97], v[90:91], -v[124:125]
	v_mul_f64 v[90:91], v[116:117], s[10:11]
	v_mul_f64 v[124:125], v[138:139], s[18:19]
	s_waitcnt vmcnt(0)
	v_add_f64 v[80:81], v[6:7], v[80:81]
	buffer_load_dword v6, off, s[60:63], 0 offset:600 ; 4-byte Folded Reload
	buffer_load_dword v7, off, s[60:63], 0 offset:604 ; 4-byte Folded Reload
	v_add_f64 v[88:89], v[96:97], v[88:89]
	s_waitcnt vmcnt(0)
	v_add_f64 v[90:91], v[6:7], v[90:91]
	buffer_load_dword v6, off, s[60:63], 0 offset:608 ; 4-byte Folded Reload
	buffer_load_dword v7, off, s[60:63], 0 offset:612 ; 4-byte Folded Reload
	v_add_f64 v[90:91], v[34:35], v[90:91]
	;; [unrolled: 5-line block ×3, first 2 shown]
	v_mul_f64 v[92:93], v[171:172], s[4:5]
	v_add_f64 v[80:81], v[80:81], v[90:91]
	v_mul_f64 v[90:91], v[185:186], s[8:9]
	s_waitcnt vmcnt(0)
	v_add_f64 v[92:93], v[6:7], v[92:93]
	buffer_load_dword v6, off, s[60:63], 0 offset:640 ; 4-byte Folded Reload
	buffer_load_dword v7, off, s[60:63], 0 offset:644 ; 4-byte Folded Reload
	v_add_f64 v[80:81], v[92:93], v[80:81]
	v_mul_f64 v[92:93], v[199:200], s[20:21]
	s_waitcnt vmcnt(0)
	v_add_f64 v[90:91], v[6:7], v[90:91]
	buffer_load_dword v6, off, s[60:63], 0 offset:648 ; 4-byte Folded Reload
	buffer_load_dword v7, off, s[60:63], 0 offset:652 ; 4-byte Folded Reload
	;; [unrolled: 6-line block ×4, first 2 shown]
	v_add_f64 v[94:95], v[90:91], v[80:81]
	v_mul_f64 v[80:81], v[197:198], s[20:21]
	v_mul_f64 v[90:91], v[152:153], s[16:17]
	;; [unrolled: 1-line block ×3, first 2 shown]
	s_waitcnt vmcnt(0)
	v_add_f64 v[92:93], v[6:7], v[92:93]
	buffer_load_dword v6, off, s[60:63], 0 offset:616 ; 4-byte Folded Reload
	buffer_load_dword v7, off, s[60:63], 0 offset:620 ; 4-byte Folded Reload
	v_add_f64 v[94:95], v[92:93], v[94:95]
	s_waitcnt vmcnt(0)
	v_add_f64 v[80:81], v[80:81], -v[6:7]
	buffer_load_dword v6, off, s[60:63], 0 offset:584 ; 4-byte Folded Reload
	buffer_load_dword v7, off, s[60:63], 0 offset:588 ; 4-byte Folded Reload
	s_waitcnt vmcnt(0)
	v_add_f64 v[90:91], v[90:91], -v[6:7]
	buffer_load_dword v6, off, s[60:63], 0 offset:264 ; 4-byte Folded Reload
	buffer_load_dword v7, off, s[60:63], 0 offset:268 ; 4-byte Folded Reload
	;; [unrolled: 4-line block ×3, first 2 shown]
	v_add_f64 v[98:99], v[32:33], v[98:99]
	s_waitcnt vmcnt(0)
	v_add_f64 v[100:101], v[100:101], -v[6:7]
	buffer_load_dword v6, off, s[60:63], 0 offset:576 ; 4-byte Folded Reload
	buffer_load_dword v7, off, s[60:63], 0 offset:580 ; 4-byte Folded Reload
	v_add_f64 v[98:99], v[100:101], v[98:99]
	v_mul_f64 v[100:101], v[169:170], s[4:5]
	v_add_f64 v[90:91], v[90:91], v[98:99]
	v_mul_f64 v[98:99], v[183:184], s[8:9]
	s_waitcnt vmcnt(0)
	v_add_f64 v[100:101], v[100:101], -v[6:7]
	buffer_load_dword v6, off, s[60:63], 0 offset:592 ; 4-byte Folded Reload
	buffer_load_dword v7, off, s[60:63], 0 offset:596 ; 4-byte Folded Reload
	v_add_f64 v[90:91], v[100:101], v[90:91]
	v_mul_f64 v[100:101], v[158:159], s[24:25]
	v_mul_f64 v[158:159], v[207:208], s[20:21]
	s_waitcnt vmcnt(0)
	v_add_f64 v[98:99], v[98:99], -v[6:7]
	buffer_load_dword v6, off, s[60:63], 0 offset:392 ; 4-byte Folded Reload
	buffer_load_dword v7, off, s[60:63], 0 offset:396 ; 4-byte Folded Reload
	v_add_f64 v[90:91], v[98:99], v[90:91]
	v_mul_f64 v[98:99], v[114:115], s[4:5]
	v_mul_f64 v[114:115], v[114:115], s[8:9]
	v_add_f64 v[80:81], v[80:81], v[90:91]
	v_mul_f64 v[90:91], v[116:117], s[22:23]
	v_mul_f64 v[116:117], v[207:208], s[10:11]
	s_waitcnt vmcnt(0)
	v_add_f64 v[100:101], v[6:7], v[100:101]
	buffer_load_dword v6, off, s[60:63], 0 offset:248 ; 4-byte Folded Reload
	buffer_load_dword v7, off, s[60:63], 0 offset:252 ; 4-byte Folded Reload
	s_waitcnt vmcnt(0)
	v_add_f64 v[102:103], v[6:7], v[102:103]
	buffer_load_dword v6, off, s[60:63], 0 offset:344 ; 4-byte Folded Reload
	buffer_load_dword v7, off, s[60:63], 0 offset:348 ; 4-byte Folded Reload
	v_add_f64 v[102:103], v[34:35], v[102:103]
	s_waitcnt vmcnt(0)
	v_add_f64 v[104:105], v[6:7], v[104:105]
	buffer_load_dword v6, off, s[60:63], 0 offset:440 ; 4-byte Folded Reload
	buffer_load_dword v7, off, s[60:63], 0 offset:444 ; 4-byte Folded Reload
	v_add_f64 v[102:103], v[104:105], v[102:103]
	v_mul_f64 v[104:105], v[171:172], s[16:17]
	v_add_f64 v[100:101], v[100:101], v[102:103]
	v_mul_f64 v[102:103], v[185:186], s[22:23]
	s_waitcnt vmcnt(0)
	v_add_f64 v[104:105], v[6:7], v[104:105]
	buffer_load_dword v6, off, s[60:63], 0 offset:568 ; 4-byte Folded Reload
	buffer_load_dword v7, off, s[60:63], 0 offset:572 ; 4-byte Folded Reload
	v_add_f64 v[100:101], v[104:105], v[100:101]
	v_mul_f64 v[104:105], v[221:222], s[22:23]
	s_waitcnt vmcnt(0)
	v_add_f64 v[106:107], v[106:107], -v[6:7]
	buffer_load_dword v6, off, s[60:63], 0 offset:520 ; 4-byte Folded Reload
	buffer_load_dword v7, off, s[60:63], 0 offset:524 ; 4-byte Folded Reload
	v_add_f64 v[106:107], v[106:107], v[80:81]
	v_mul_f64 v[80:81], v[169:170], s[16:17]
	v_mul_f64 v[169:170], v[221:222], s[4:5]
	s_waitcnt vmcnt(0)
	v_add_f64 v[102:103], v[6:7], v[102:103]
	buffer_load_dword v6, off, s[60:63], 0 offset:536 ; 4-byte Folded Reload
	buffer_load_dword v7, off, s[60:63], 0 offset:540 ; 4-byte Folded Reload
	v_add_f64 v[100:101], v[102:103], v[100:101]
	v_mul_f64 v[102:103], v[138:139], s[22:23]
	s_waitcnt vmcnt(0)
	v_add_f64 v[108:109], v[6:7], v[108:109]
	buffer_load_dword v6, off, s[60:63], 0 offset:552 ; 4-byte Folded Reload
	buffer_load_dword v7, off, s[60:63], 0 offset:556 ; 4-byte Folded Reload
	v_add_f64 v[100:101], v[108:109], v[100:101]
	v_mul_f64 v[108:109], v[138:139], s[10:11]
	v_mul_f64 v[138:139], v[171:172], s[10:11]
	v_mul_f64 v[171:172], v[223:224], s[4:5]
	s_waitcnt vmcnt(0)
	v_add_f64 v[104:105], v[104:105], -v[6:7]
	buffer_load_dword v6, off, s[60:63], 0 offset:544 ; 4-byte Folded Reload
	buffer_load_dword v7, off, s[60:63], 0 offset:548 ; 4-byte Folded Reload
	s_waitcnt vmcnt(0)
	v_add_f64 v[116:117], v[6:7], v[116:117]
	buffer_load_dword v6, off, s[60:63], 0 offset:480 ; 4-byte Folded Reload
	buffer_load_dword v7, off, s[60:63], 0 offset:484 ; 4-byte Folded Reload
	v_add_f64 v[46:47], v[116:117], v[100:101]
	s_waitcnt vmcnt(0)
	v_add_f64 v[118:119], v[118:119], -v[6:7]
	buffer_load_dword v6, off, s[60:63], 0 offset:400 ; 4-byte Folded Reload
	buffer_load_dword v7, off, s[60:63], 0 offset:404 ; 4-byte Folded Reload
	s_waitcnt vmcnt(0)
	v_add_f64 v[80:81], v[80:81], -v[6:7]
	buffer_load_dword v6, off, s[60:63], 0 offset:184 ; 4-byte Folded Reload
	buffer_load_dword v7, off, s[60:63], 0 offset:188 ; 4-byte Folded Reload
	;; [unrolled: 4-line block ×3, first 2 shown]
	v_add_f64 v[114:115], v[32:33], v[114:115]
	s_waitcnt vmcnt(0)
	v_add_f64 v[124:125], v[124:125], -v[6:7]
	buffer_load_dword v6, off, s[60:63], 0 offset:168 ; 4-byte Folded Reload
	buffer_load_dword v7, off, s[60:63], 0 offset:172 ; 4-byte Folded Reload
	v_add_f64 v[114:115], v[124:125], v[114:115]
	v_mul_f64 v[124:125], v[197:198], s[18:19]
	s_waitcnt vmcnt(0)
	v_add_f64 v[90:91], v[6:7], v[90:91]
	buffer_load_dword v6, off, s[60:63], 0 offset:336 ; 4-byte Folded Reload
	buffer_load_dword v7, off, s[60:63], 0 offset:340 ; 4-byte Folded Reload
	v_add_f64 v[90:91], v[34:35], v[90:91]
	s_waitcnt vmcnt(0)
	v_add_f64 v[134:135], v[134:135], -v[6:7]
	buffer_load_dword v6, off, s[60:63], 0 offset:256 ; 4-byte Folded Reload
	buffer_load_dword v7, off, s[60:63], 0 offset:260 ; 4-byte Folded Reload
	v_add_f64 v[114:115], v[134:135], v[114:115]
	v_mul_f64 v[134:135], v[205:206], s[20:21]
	v_add_f64 v[114:115], v[80:81], v[114:115]
	v_add_f64 v[80:81], v[18:19], v[14:15]
	;; [unrolled: 1-line block ×3, first 2 shown]
	s_waitcnt vmcnt(0)
	v_add_f64 v[122:123], v[6:7], v[122:123]
	buffer_load_dword v6, off, s[60:63], 0 offset:304 ; 4-byte Folded Reload
	buffer_load_dword v7, off, s[60:63], 0 offset:308 ; 4-byte Folded Reload
	v_add_f64 v[90:91], v[122:123], v[90:91]
	v_mul_f64 v[122:123], v[197:198], s[16:17]
	s_waitcnt vmcnt(0)
	v_add_f64 v[132:133], v[6:7], v[132:133]
	buffer_load_dword v6, off, s[60:63], 0 offset:352 ; 4-byte Folded Reload
	buffer_load_dword v7, off, s[60:63], 0 offset:356 ; 4-byte Folded Reload
	v_add_f64 v[90:91], v[132:133], v[90:91]
	v_mul_f64 v[132:133], v[205:206], s[8:9]
	s_waitcnt vmcnt(0)
	v_add_f64 v[142:143], v[6:7], v[142:143]
	buffer_load_dword v6, off, s[60:63], 0 offset:384 ; 4-byte Folded Reload
	buffer_load_dword v7, off, s[60:63], 0 offset:388 ; 4-byte Folded Reload
	v_add_f64 v[142:143], v[142:143], v[90:91]
	v_add_f64 v[90:91], v[82:83], v[20:21]
	s_waitcnt vmcnt(0)
	v_add_f64 v[150:151], v[6:7], v[150:151]
	buffer_load_dword v6, off, s[60:63], 0 offset:432 ; 4-byte Folded Reload
	buffer_load_dword v7, off, s[60:63], 0 offset:436 ; 4-byte Folded Reload
	v_add_f64 v[14:15], v[150:151], v[142:143]
	s_waitcnt vmcnt(0)
	v_add_f64 v[154:155], v[6:7], v[154:155]
	buffer_load_dword v6, off, s[60:63], 0 offset:528 ; 4-byte Folded Reload
	buffer_load_dword v7, off, s[60:63], 0 offset:532 ; 4-byte Folded Reload
	;; [unrolled: 5-line block ×3, first 2 shown]
	s_waitcnt vmcnt(0)
	v_add_f64 v[20:21], v[156:157], -v[6:7]
	buffer_load_dword v6, off, s[60:63], 0 offset:488 ; 4-byte Folded Reload
	buffer_load_dword v7, off, s[60:63], 0 offset:492 ; 4-byte Folded Reload
	v_add_f64 v[20:21], v[20:21], v[44:45]
	s_waitcnt vmcnt(0)
	v_add_f64 v[82:83], v[6:7], v[161:162]
	buffer_load_dword v6, off, s[60:63], 0 offset:512 ; 4-byte Folded Reload
	buffer_load_dword v7, off, s[60:63], 0 offset:516 ; 4-byte Folded Reload
	v_add_f64 v[14:15], v[82:83], v[14:15]
	s_waitcnt vmcnt(0)
	v_add_f64 v[92:93], v[175:176], -v[6:7]
	buffer_load_dword v6, off, s[60:63], 0 offset:496 ; 4-byte Folded Reload
	buffer_load_dword v7, off, s[60:63], 0 offset:500 ; 4-byte Folded Reload
	s_waitcnt vmcnt(0)
	v_add_f64 v[36:37], v[163:164], -v[6:7]
	buffer_load_dword v6, off, s[60:63], 0 offset:504 ; 4-byte Folded Reload
	buffer_load_dword v7, off, s[60:63], 0 offset:508 ; 4-byte Folded Reload
	v_add_f64 v[20:21], v[36:37], v[20:21]
	s_waitcnt vmcnt(0)
	v_add_f64 v[38:39], v[6:7], v[171:172]
	buffer_load_dword v6, off, s[60:63], 0 offset:104 ; 4-byte Folded Reload
	buffer_load_dword v7, off, s[60:63], 0 offset:108 ; 4-byte Folded Reload
	v_add_f64 v[38:39], v[38:39], v[14:15]
	s_waitcnt vmcnt(0)
	v_add_f64 v[44:45], v[6:7], v[110:111]
	buffer_load_dword v6, off, s[60:63], 0 offset:92 ; 4-byte Folded Reload
	buffer_load_dword v7, off, s[60:63], 0 offset:96 ; 4-byte Folded Reload
	v_add_f64 v[34:35], v[34:35], v[44:45]
	s_waitcnt vmcnt(0)
	v_add_f64 v[40:41], v[98:99], -v[6:7]
	buffer_load_dword v6, off, s[60:63], 0 offset:120 ; 4-byte Folded Reload
	buffer_load_dword v7, off, s[60:63], 0 offset:124 ; 4-byte Folded Reload
	v_add_f64 v[40:41], v[32:33], v[40:41]
	s_waitcnt vmcnt(0)
	v_add_f64 v[42:43], v[112:113], -v[6:7]
	;; [unrolled: 5-line block ×3, first 2 shown]
	buffer_load_dword v6, off, s[60:63], 0 offset:152 ; 4-byte Folded Reload
	buffer_load_dword v7, off, s[60:63], 0 offset:156 ; 4-byte Folded Reload
	v_add_f64 v[32:33], v[82:83], v[32:33]
	s_waitcnt vmcnt(0)
	v_add_f64 v[98:99], v[6:7], v[120:121]
	buffer_load_dword v6, off, s[60:63], 0 offset:136 ; 4-byte Folded Reload
	buffer_load_dword v7, off, s[60:63], 0 offset:140 ; 4-byte Folded Reload
	v_add_f64 v[34:35], v[98:99], v[34:35]
	s_waitcnt vmcnt(0)
	v_add_f64 v[44:45], v[102:103], -v[6:7]
	buffer_load_dword v6, off, s[60:63], 0 offset:232 ; 4-byte Folded Reload
	buffer_load_dword v7, off, s[60:63], 0 offset:236 ; 4-byte Folded Reload
	v_add_f64 v[40:41], v[44:45], v[40:41]
	s_waitcnt vmcnt(0)
	v_add_f64 v[42:43], v[130:131], -v[6:7]
	buffer_load_dword v6, off, s[60:63], 0 offset:216 ; 4-byte Folded Reload
	buffer_load_dword v7, off, s[60:63], 0 offset:220 ; 4-byte Folded Reload
	v_add_f64 v[32:33], v[42:43], v[32:33]
	s_waitcnt vmcnt(0)
	v_add_f64 v[48:49], v[6:7], v[128:129]
	buffer_load_dword v6, off, s[60:63], 0 offset:200 ; 4-byte Folded Reload
	buffer_load_dword v7, off, s[60:63], 0 offset:204 ; 4-byte Folded Reload
	v_add_f64 v[34:35], v[48:49], v[34:35]
	s_waitcnt vmcnt(0)
	v_add_f64 v[50:51], v[126:127], -v[6:7]
	buffer_load_dword v6, off, s[60:63], 0 offset:296 ; 4-byte Folded Reload
	buffer_load_dword v7, off, s[60:63], 0 offset:300 ; 4-byte Folded Reload
	v_add_f64 v[40:41], v[50:51], v[40:41]
	s_waitcnt vmcnt(0)
	v_add_f64 v[44:45], v[140:141], -v[6:7]
	;; [unrolled: 15-line block ×5, first 2 shown]
	buffer_load_dword v6, off, s[60:63], 0 offset:416 ; 4-byte Folded Reload
	buffer_load_dword v7, off, s[60:63], 0 offset:420 ; 4-byte Folded Reload
	v_add_f64 v[32:33], v[42:43], v[32:33]
	s_waitcnt vmcnt(0)
	v_add_f64 v[52:53], v[6:7], v[158:159]
	buffer_load_dword v6, off, s[60:63], 0 offset:408 ; 4-byte Folded Reload
	buffer_load_dword v7, off, s[60:63], 0 offset:412 ; 4-byte Folded Reload
	v_add_f64 v[52:53], v[52:53], v[34:35]
	v_add_f64 v[34:35], v[18:19], v[46:47]
	;; [unrolled: 1-line block ×4, first 2 shown]
	v_mul_lo_u16_e32 v4, 17, v160
	v_add_lshl_u32 v4, v255, v4, 4
	s_waitcnt vmcnt(0)
	v_add_f64 v[48:49], v[134:135], -v[6:7]
	buffer_load_dword v6, off, s[60:63], 0 offset:472 ; 4-byte Folded Reload
	buffer_load_dword v7, off, s[60:63], 0 offset:476 ; 4-byte Folded Reload
	v_add_f64 v[40:41], v[48:49], v[40:41]
	s_waitcnt vmcnt(0)
	v_add_f64 v[50:51], v[169:170], -v[6:7]
	buffer_load_dword v6, off, s[60:63], 0 offset:456 ; 4-byte Folded Reload
	buffer_load_dword v7, off, s[60:63], 0 offset:460 ; 4-byte Folded Reload
	v_add_f64 v[36:37], v[50:51], v[32:33]
	v_add_f64 v[32:33], v[92:93], v[20:21]
	;; [unrolled: 1-line block ×3, first 2 shown]
	s_waitcnt vmcnt(0)
	v_add_f64 v[44:45], v[6:7], v[167:168]
	buffer_load_dword v6, off, s[60:63], 0 offset:448 ; 4-byte Folded Reload
	buffer_load_dword v7, off, s[60:63], 0 offset:452 ; 4-byte Folded Reload
	v_add_f64 v[42:43], v[44:45], v[52:53]
	v_add_f64 v[44:45], v[12:13], v[76:77]
	s_waitcnt vmcnt(0)
	v_add_f64 v[54:55], v[165:166], -v[6:7]
	v_add_f64 v[40:41], v[54:55], v[40:41]
	ds_write_b128 v4, v[44:47]
	ds_write_b128 v4, v[40:43] offset:16
	ds_write_b128 v4, v[36:39] offset:32
	;; [unrolled: 1-line block ×9, first 2 shown]
	buffer_load_dword v0, off, s[60:63], 0 offset:76 ; 4-byte Folded Reload
	buffer_load_dword v1, off, s[60:63], 0 offset:80 ; 4-byte Folded Reload
	buffer_load_dword v2, off, s[60:63], 0 offset:84 ; 4-byte Folded Reload
	buffer_load_dword v3, off, s[60:63], 0 offset:88 ; 4-byte Folded Reload
	s_waitcnt vmcnt(0)
	ds_write_b128 v4, v[0:3] offset:160
	buffer_load_dword v0, off, s[60:63], 0 offset:60 ; 4-byte Folded Reload
	buffer_load_dword v1, off, s[60:63], 0 offset:64 ; 4-byte Folded Reload
	buffer_load_dword v2, off, s[60:63], 0 offset:68 ; 4-byte Folded Reload
	buffer_load_dword v3, off, s[60:63], 0 offset:72 ; 4-byte Folded Reload
	s_waitcnt vmcnt(0)
	ds_write_b128 v4, v[0:3] offset:176
	;; [unrolled: 6-line block ×3, first 2 shown]
	ds_write_b128 v4, v[8:11] offset:208
	ds_write_b128 v4, v[24:27] offset:224
	buffer_load_dword v0, off, s[60:63], 0 offset:28 ; 4-byte Folded Reload
	buffer_load_dword v1, off, s[60:63], 0 offset:32 ; 4-byte Folded Reload
	;; [unrolled: 1-line block ×4, first 2 shown]
	s_waitcnt vmcnt(0)
	ds_write_b128 v4, v[0:3] offset:240
	buffer_load_dword v0, off, s[60:63], 0 offset:12 ; 4-byte Folded Reload
	buffer_load_dword v1, off, s[60:63], 0 offset:16 ; 4-byte Folded Reload
	;; [unrolled: 1-line block ×4, first 2 shown]
	s_waitcnt vmcnt(0)
	ds_write_b128 v4, v[0:3] offset:256
.LBB0_7:
	s_or_b64 exec, exec, s[26:27]
	s_movk_i32 s8, 0xf1
	v_mul_lo_u16_sdwa v0, v160, s8 dst_sel:DWORD dst_unused:UNUSED_PAD src0_sel:BYTE_0 src1_sel:DWORD
	v_lshrrev_b16_e32 v0, 12, v0
	v_mul_lo_u16_e32 v1, 17, v0
	v_sub_u16_e32 v2, v160, v1
	v_add_u16_e32 v1, 51, v160
	v_mul_lo_u16_sdwa v3, v1, s8 dst_sel:DWORD dst_unused:UNUSED_PAD src0_sel:BYTE_0 src1_sel:DWORD
	v_lshrrev_b16_e32 v3, 12, v3
	v_mul_lo_u16_e32 v4, 17, v3
	v_sub_u16_e32 v4, v1, v4
	v_mov_b32_e32 v1, 5
	v_lshlrev_b32_sdwa v5, v1, v4 dst_sel:DWORD dst_unused:UNUSED_PAD src0_sel:DWORD src1_sel:BYTE_0
	s_load_dwordx4 s[4:7], s[6:7], 0x0
	s_waitcnt vmcnt(0) lgkmcnt(0)
	s_barrier
	global_load_dwordx4 v[36:39], v5, s[2:3] offset:16
	global_load_dwordx4 v[44:47], v5, s[2:3]
	v_add_u16_e32 v5, 0x66, v160
	v_mul_lo_u16_sdwa v6, v5, s8 dst_sel:DWORD dst_unused:UNUSED_PAD src0_sel:BYTE_0 src1_sel:DWORD
	v_lshrrev_b16_e32 v6, 12, v6
	v_mul_lo_u16_e32 v7, 17, v6
	v_sub_u16_e32 v5, v5, v7
	v_lshlrev_b32_sdwa v1, v1, v5 dst_sel:DWORD dst_unused:UNUSED_PAD src0_sel:DWORD src1_sel:BYTE_0
	global_load_dwordx4 v[161:164], v1, s[2:3] offset:16
	global_load_dwordx4 v[165:168], v1, s[2:3]
	v_lshlrev_b16_e32 v1, 1, v2
	v_and_b32_e32 v1, 0xfe, v1
	v_lshlrev_b32_e32 v1, 4, v1
	global_load_dwordx4 v[52:55], v1, s[2:3]
	global_load_dwordx4 v[48:51], v1, s[2:3] offset:16
	v_add_lshl_u32 v1, v255, v160, 4
	ds_read_b128 v[56:59], v1
	ds_read_b128 v[60:63], v1 offset:816
	ds_read_b128 v[64:67], v1 offset:4896
	;; [unrolled: 1-line block ×8, first 2 shown]
	s_mov_b32 s8, 0xe8584caa
	s_mov_b32 s9, 0x3febb67a
	;; [unrolled: 1-line block ×4, first 2 shown]
	v_mul_u32_u24_e32 v3, 51, v3
	v_mul_u32_u24_e32 v6, 51, v6
	v_mad_legacy_u16 v0, v0, 51, v2
	v_add_u32_sdwa v2, v3, v4 dst_sel:DWORD dst_unused:UNUSED_PAD src0_sel:DWORD src1_sel:BYTE_0
	v_add_u32_sdwa v3, v6, v5 dst_sel:DWORD dst_unused:UNUSED_PAD src0_sel:DWORD src1_sel:BYTE_0
	v_and_b32_e32 v0, 0xff, v0
	v_add_lshl_u32 v170, v255, v2, 4
	v_add_lshl_u32 v169, v255, v3, 4
	;; [unrolled: 1-line block ×3, first 2 shown]
	v_lshlrev_b32_e32 v0, 7, v160
	s_waitcnt vmcnt(0) lgkmcnt(0)
	s_barrier
	s_mov_b32 s24, 0xa2cf5039
	s_mov_b32 s17, 0x3fe491b7
	;; [unrolled: 1-line block ×10, first 2 shown]
	v_mul_f64 v[16:17], v[70:71], v[38:39]
	v_mul_f64 v[12:13], v[82:83], v[46:47]
	;; [unrolled: 1-line block ×12, first 2 shown]
	v_fma_f64 v[12:13], v[80:81], v[44:45], -v[12:13]
	v_fma_f64 v[14:15], v[82:83], v[44:45], v[14:15]
	v_fma_f64 v[16:17], v[68:69], v[36:37], -v[16:17]
	v_fma_f64 v[18:19], v[70:71], v[36:37], v[18:19]
	;; [unrolled: 2-line block ×6, first 2 shown]
	v_add_f64 v[64:65], v[60:61], v[12:13]
	v_add_f64 v[66:67], v[12:13], v[16:17]
	;; [unrolled: 1-line block ×4, first 2 shown]
	v_add_f64 v[100:101], v[74:75], -v[82:83]
	v_add_f64 v[102:103], v[58:59], v[74:75]
	v_add_f64 v[74:75], v[74:75], v[82:83]
	v_add_f64 v[84:85], v[14:15], -v[18:19]
	v_add_f64 v[14:15], v[14:15], v[18:19]
	v_add_f64 v[90:91], v[20:21], v[68:69]
	;; [unrolled: 3-line block ×3, first 2 shown]
	v_add_f64 v[96:97], v[56:57], v[72:73]
	v_add_f64 v[12:13], v[12:13], -v[16:17]
	v_add_f64 v[104:105], v[72:73], -v[80:81]
	v_add_f64 v[64:65], v[64:65], v[16:17]
	v_fma_f64 v[16:17], v[66:67], -0.5, v[60:61]
	v_add_f64 v[66:67], v[86:87], v[18:19]
	v_fma_f64 v[86:87], v[98:99], -0.5, v[56:57]
	v_fma_f64 v[74:75], v[74:75], -0.5, v[58:59]
	v_add_f64 v[88:89], v[76:77], v[20:21]
	v_fma_f64 v[14:15], v[14:15], -0.5, v[62:63]
	v_add_f64 v[20:21], v[20:21], -v[68:69]
	v_fma_f64 v[18:19], v[90:91], -0.5, v[76:77]
	v_fma_f64 v[22:23], v[22:23], -0.5, v[78:79]
	v_add_f64 v[56:57], v[96:97], v[80:81]
	v_add_f64 v[58:59], v[102:103], v[82:83]
	v_fma_f64 v[76:77], v[100:101], s[8:9], v[86:87]
	v_fma_f64 v[78:79], v[104:105], s[10:11], v[74:75]
	;; [unrolled: 1-line block ×4, first 2 shown]
	v_add_f64 v[60:61], v[88:89], v[68:69]
	v_add_f64 v[62:63], v[94:95], v[70:71]
	v_fma_f64 v[68:69], v[84:85], s[8:9], v[16:17]
	v_fma_f64 v[70:71], v[12:13], s[10:11], v[14:15]
	;; [unrolled: 1-line block ×8, first 2 shown]
	ds_write_b128 v255, v[56:59]
	ds_write_b128 v255, v[76:79] offset:272
	ds_write_b128 v255, v[80:83] offset:544
	ds_write_b128 v170, v[64:67]
	ds_write_b128 v170, v[68:71] offset:272
	ds_write_b128 v170, v[72:75] offset:544
	ds_write_b128 v169, v[60:63]
	ds_write_b128 v169, v[84:87] offset:272
	ds_write_b128 v169, v[88:91] offset:544
	s_waitcnt lgkmcnt(0)
	s_barrier
	global_load_dwordx4 v[72:75], v0, s[2:3] offset:544
	global_load_dwordx4 v[64:67], v0, s[2:3] offset:560
	;; [unrolled: 1-line block ×8, first 2 shown]
	ds_read_b128 v[88:91], v1
	ds_read_b128 v[92:95], v1 offset:816
	ds_read_b128 v[96:99], v1 offset:1632
	;; [unrolled: 1-line block ×8, first 2 shown]
	buffer_load_dword v2, off, s[60:63], 0 offset:8 ; 4-byte Folded Reload
	s_mov_b32 s8, 0xe8584cab
	s_mov_b32 s2, 0x748a0bf8
	;; [unrolled: 1-line block ×4, first 2 shown]
	v_mov_b32_e32 v0, v160
	buffer_store_dword v0, off, s[60:63], 0 offset:92 ; 4-byte Folded Spill
	s_waitcnt vmcnt(9) lgkmcnt(7)
	v_mul_f64 v[12:13], v[94:95], v[74:75]
	v_mul_f64 v[14:15], v[92:93], v[74:75]
	s_waitcnt vmcnt(8) lgkmcnt(6)
	v_mul_f64 v[16:17], v[98:99], v[66:67]
	s_waitcnt vmcnt(6) lgkmcnt(4)
	v_mul_f64 v[124:125], v[106:107], v[58:59]
	v_mul_f64 v[126:127], v[104:105], v[58:59]
	s_waitcnt vmcnt(5) lgkmcnt(3)
	v_mul_f64 v[128:129], v[110:111], v[70:71]
	;; [unrolled: 3-line block ×3, first 2 shown]
	s_waitcnt vmcnt(2) lgkmcnt(0)
	v_mul_f64 v[140:141], v[122:123], v[86:87]
	v_mul_f64 v[142:143], v[120:121], v[86:87]
	;; [unrolled: 1-line block ×8, first 2 shown]
	v_fma_f64 v[12:13], v[92:93], v[72:73], -v[12:13]
	v_fma_f64 v[14:15], v[94:95], v[72:73], v[14:15]
	v_fma_f64 v[16:17], v[96:97], v[64:65], -v[16:17]
	v_fma_f64 v[104:105], v[104:105], v[56:57], -v[124:125]
	v_fma_f64 v[106:107], v[106:107], v[56:57], v[126:127]
	v_fma_f64 v[92:93], v[120:121], v[84:85], -v[140:141]
	v_fma_f64 v[94:95], v[122:123], v[84:85], v[142:143]
	v_fma_f64 v[96:97], v[116:117], v[80:81], -v[136:137]
	v_fma_f64 v[108:109], v[108:109], v[68:69], -v[128:129]
	v_fma_f64 v[110:111], v[110:111], v[68:69], v[130:131]
	v_fma_f64 v[18:19], v[98:99], v[64:65], v[18:19]
	v_fma_f64 v[20:21], v[100:101], v[60:61], -v[20:21]
	v_fma_f64 v[22:23], v[102:103], v[60:61], v[22:23]
	v_fma_f64 v[98:99], v[118:119], v[80:81], v[138:139]
	v_fma_f64 v[100:101], v[112:113], v[76:77], -v[132:133]
	v_fma_f64 v[102:103], v[114:115], v[76:77], v[134:135]
	v_add_f64 v[112:113], v[12:13], v[92:93]
	v_add_f64 v[114:115], v[14:15], v[94:95]
	;; [unrolled: 1-line block ×3, first 2 shown]
	v_add_f64 v[12:13], v[12:13], -v[92:93]
	v_add_f64 v[14:15], v[14:15], -v[94:95]
	v_add_f64 v[16:17], v[16:17], -v[96:97]
	v_add_f64 v[96:97], v[104:105], v[108:109]
	v_add_f64 v[124:125], v[106:107], v[110:111]
	v_add_f64 v[118:119], v[18:19], v[98:99]
	v_add_f64 v[120:121], v[20:21], v[100:101]
	v_add_f64 v[122:123], v[22:23], v[102:103]
	v_add_f64 v[18:19], v[18:19], -v[98:99]
	v_add_f64 v[20:21], v[20:21], -v[100:101]
	;; [unrolled: 1-line block ×3, first 2 shown]
	v_mul_f64 v[98:99], v[12:13], s[16:17]
	v_mul_f64 v[100:101], v[14:15], s[16:17]
	v_fma_f64 v[102:103], v[112:113], s[24:25], v[88:89]
	v_fma_f64 v[126:127], v[114:115], s[24:25], v[90:91]
	v_fma_f64 v[128:129], v[96:97], s[24:25], v[88:89]
	v_fma_f64 v[130:131], v[124:125], s[24:25], v[90:91]
	v_add_f64 v[92:93], v[104:105], -v[108:109]
	v_add_f64 v[94:95], v[106:107], -v[110:111]
	v_fma_f64 v[98:99], v[16:17], s[20:21], v[98:99]
	v_fma_f64 v[100:101], v[18:19], s[20:21], v[100:101]
	;; [unrolled: 1-line block ×6, first 2 shown]
	s_mov_b32 s17, 0xbfe491b7
	v_mul_f64 v[144:145], v[92:93], s[20:21]
	v_mul_f64 v[146:147], v[94:95], s[20:21]
	v_fma_f64 v[148:149], v[116:117], s[24:25], v[88:89]
	v_fma_f64 v[150:151], v[118:119], s[24:25], v[90:91]
	v_mul_f64 v[152:153], v[92:93], s[16:17]
	v_mul_f64 v[154:155], v[94:95], s[16:17]
	v_fma_f64 v[98:99], v[20:21], s[8:9], v[98:99]
	v_fma_f64 v[100:101], v[22:23], s[8:9], v[100:101]
	v_fma_f64 v[102:103], v[120:121], -0.5, v[102:103]
	v_fma_f64 v[126:127], v[122:123], -0.5, v[126:127]
	;; [unrolled: 1-line block ×4, first 2 shown]
	v_add_f64 v[132:133], v[92:93], v[12:13]
	v_add_f64 v[134:135], v[94:95], v[14:15]
	;; [unrolled: 1-line block ×4, first 2 shown]
	v_fma_f64 v[152:153], v[12:13], s[20:21], v[152:153]
	v_fma_f64 v[154:155], v[14:15], s[20:21], v[154:155]
	;; [unrolled: 1-line block ×6, first 2 shown]
	v_fma_f64 v[126:127], v[16:17], s[16:17], -v[144:145]
	v_fma_f64 v[144:145], v[18:19], s[16:17], -v[146:147]
	v_fma_f64 v[98:99], v[116:117], s[18:19], v[128:129]
	v_fma_f64 v[102:103], v[118:119], s[18:19], v[130:131]
	;; [unrolled: 1-line block ×4, first 2 shown]
	v_add_f64 v[136:137], v[88:89], v[120:121]
	v_add_f64 v[138:139], v[90:91], v[122:123]
	;; [unrolled: 1-line block ×3, first 2 shown]
	v_fma_f64 v[152:153], v[20:21], s[10:11], v[152:153]
	v_fma_f64 v[154:155], v[22:23], s[10:11], v[154:155]
	v_add_f64 v[116:117], v[120:121], v[140:141]
	v_add_f64 v[118:119], v[122:123], v[142:143]
	;; [unrolled: 1-line block ×3, first 2 shown]
	v_fma_f64 v[20:21], v[20:21], s[8:9], v[126:127]
	v_fma_f64 v[22:23], v[22:23], s[8:9], v[144:145]
	v_fma_f64 v[120:121], v[120:121], -0.5, v[128:129]
	v_fma_f64 v[122:123], v[122:123], -0.5, v[130:131]
	v_add_f64 v[132:133], v[132:133], -v[16:17]
	v_add_f64 v[134:135], v[134:135], -v[18:19]
	v_fma_f64 v[18:19], v[18:19], s[2:3], v[154:155]
	v_fma_f64 v[16:17], v[16:17], s[2:3], v[152:153]
	v_add_f64 v[104:105], v[104:105], v[116:117]
	v_add_f64 v[106:107], v[106:107], v[118:119]
	v_fma_f64 v[116:117], v[156:157], -0.5, v[136:137]
	v_fma_f64 v[118:119], v[124:125], -0.5, v[138:139]
	v_fma_f64 v[12:13], v[12:13], s[2:3], v[20:21]
	v_fma_f64 v[14:15], v[14:15], s[2:3], v[22:23]
	;; [unrolled: 1-line block ×4, first 2 shown]
	v_add_f64 v[92:93], v[100:101], v[92:93]
	v_add_f64 v[94:95], v[94:95], -v[158:159]
	v_add_f64 v[96:97], v[18:19], v[98:99]
	v_add_f64 v[98:99], v[102:103], -v[16:17]
	v_add_f64 v[112:113], v[108:109], v[104:105]
	v_add_f64 v[114:115], v[110:111], v[106:107]
	v_mul_f64 v[120:121], v[132:133], s[8:9]
	v_mul_f64 v[122:123], v[134:135], s[8:9]
	v_fma_f64 v[104:105], v[134:135], s[8:9], v[116:117]
	v_fma_f64 v[106:107], v[132:133], s[10:11], v[118:119]
	v_add_f64 v[108:109], v[14:15], v[20:21]
	v_add_f64 v[110:111], v[22:23], -v[12:13]
	v_fma_f64 v[100:101], v[100:101], -2.0, v[92:93]
	v_fma_f64 v[102:103], v[158:159], 2.0, v[94:95]
	v_add_f64 v[88:89], v[88:89], v[112:113]
	v_add_f64 v[90:91], v[90:91], v[114:115]
	v_fma_f64 v[116:117], v[18:19], -2.0, v[96:97]
	v_fma_f64 v[118:119], v[16:17], 2.0, v[98:99]
	v_fma_f64 v[112:113], v[122:123], -2.0, v[104:105]
	v_fma_f64 v[114:115], v[120:121], 2.0, v[106:107]
	;; [unrolled: 2-line block ×3, first 2 shown]
	s_waitcnt vmcnt(1)
	v_lshl_add_u32 v160, v0, 4, v2
	v_lshl_add_u32 v0, v0, 4, v2
	ds_write_b128 v160, v[88:91]
	ds_write_b128 v0, v[92:95] offset:816
	ds_write_b128 v0, v[96:99] offset:1632
	;; [unrolled: 1-line block ×8, first 2 shown]
	s_waitcnt vmcnt(0) lgkmcnt(0)
	s_barrier
	s_and_saveexec_b64 s[2:3], s[0:1]
	s_cbranch_execz .LBB0_9
; %bb.8:
	buffer_load_dword v2, off, s[60:63], 0 offset:92 ; 4-byte Folded Reload
	ds_read_b128 v[125:128], v160
	s_movk_i32 s8, 0x2000
	s_waitcnt vmcnt(0)
	v_lshlrev_b32_e32 v2, 4, v2
	v_add_co_u32_e32 v124, vcc, s12, v2
	v_mov_b32_e32 v2, s13
	v_addc_co_u32_e32 v7, vcc, 0, v2, vcc
	v_add_co_u32_e32 v12, vcc, 0x1cb0, v124
	v_addc_co_u32_e32 v13, vcc, 0, v7, vcc
	v_add_co_u32_e32 v14, vcc, 0x1000, v124
	v_addc_co_u32_e32 v15, vcc, 0, v7, vcc
	global_load_dwordx4 v[129:132], v[14:15], off offset:3248
	s_waitcnt vmcnt(0) lgkmcnt(0)
	v_mul_f64 v[14:15], v[127:128], v[131:132]
	v_fma_f64 v[133:134], v[125:126], v[129:130], -v[14:15]
	v_mul_f64 v[14:15], v[125:126], v[131:132]
	v_fma_f64 v[135:136], v[127:128], v[129:130], v[14:15]
	global_load_dwordx4 v[129:132], v[12:13], off offset:432
	ds_write_b128 v160, v[133:136]
	ds_read_b128 v[125:128], v0 offset:432
	s_waitcnt vmcnt(0) lgkmcnt(0)
	v_mul_f64 v[14:15], v[127:128], v[131:132]
	v_fma_f64 v[133:134], v[125:126], v[129:130], -v[14:15]
	v_mul_f64 v[14:15], v[125:126], v[131:132]
	v_fma_f64 v[135:136], v[127:128], v[129:130], v[14:15]
	global_load_dwordx4 v[129:132], v[12:13], off offset:864
	ds_read_b128 v[125:128], v0 offset:864
	ds_write_b128 v0, v[133:136] offset:432
	s_waitcnt vmcnt(0) lgkmcnt(1)
	v_mul_f64 v[14:15], v[127:128], v[131:132]
	v_fma_f64 v[133:134], v[125:126], v[129:130], -v[14:15]
	v_mul_f64 v[14:15], v[125:126], v[131:132]
	v_fma_f64 v[135:136], v[127:128], v[129:130], v[14:15]
	global_load_dwordx4 v[129:132], v[12:13], off offset:1296
	ds_read_b128 v[125:128], v0 offset:1296
	ds_write_b128 v0, v[133:136] offset:864
	;; [unrolled: 8-line block ×8, first 2 shown]
	s_waitcnt vmcnt(0) lgkmcnt(1)
	v_mul_f64 v[12:13], v[127:128], v[131:132]
	v_fma_f64 v[133:134], v[125:126], v[129:130], -v[12:13]
	v_mul_f64 v[12:13], v[125:126], v[131:132]
	v_fma_f64 v[135:136], v[127:128], v[129:130], v[12:13]
	v_add_co_u32_e32 v12, vcc, s8, v124
	v_addc_co_u32_e32 v13, vcc, 0, v7, vcc
	global_load_dwordx4 v[129:132], v[12:13], off offset:3472
	ds_read_b128 v[125:128], v0 offset:4320
	s_movk_i32 s8, 0x3000
	ds_write_b128 v0, v[133:136] offset:3888
	s_waitcnt vmcnt(0) lgkmcnt(1)
	v_mul_f64 v[14:15], v[127:128], v[131:132]
	v_fma_f64 v[133:134], v[125:126], v[129:130], -v[14:15]
	v_mul_f64 v[14:15], v[125:126], v[131:132]
	v_fma_f64 v[135:136], v[127:128], v[129:130], v[14:15]
	global_load_dwordx4 v[129:132], v[12:13], off offset:3904
	ds_read_b128 v[125:128], v0 offset:4752
	ds_write_b128 v0, v[133:136] offset:4320
	s_waitcnt vmcnt(0) lgkmcnt(1)
	v_mul_f64 v[12:13], v[127:128], v[131:132]
	v_fma_f64 v[133:134], v[125:126], v[129:130], -v[12:13]
	v_mul_f64 v[12:13], v[125:126], v[131:132]
	v_fma_f64 v[135:136], v[127:128], v[129:130], v[12:13]
	v_add_co_u32_e32 v12, vcc, s8, v124
	v_addc_co_u32_e32 v13, vcc, 0, v7, vcc
	global_load_dwordx4 v[129:132], v[12:13], off offset:240
	ds_read_b128 v[125:128], v0 offset:5184
	ds_write_b128 v0, v[133:136] offset:4752
	s_waitcnt vmcnt(0) lgkmcnt(1)
	v_mul_f64 v[14:15], v[127:128], v[131:132]
	v_fma_f64 v[133:134], v[125:126], v[129:130], -v[14:15]
	v_mul_f64 v[14:15], v[125:126], v[131:132]
	v_fma_f64 v[135:136], v[127:128], v[129:130], v[14:15]
	global_load_dwordx4 v[128:131], v[12:13], off offset:672
	ds_read_b128 v[124:127], v0 offset:5616
	ds_write_b128 v0, v[133:136] offset:5184
	s_waitcnt vmcnt(0) lgkmcnt(1)
	v_mul_f64 v[14:15], v[126:127], v[130:131]
	v_fma_f64 v[132:133], v[124:125], v[128:129], -v[14:15]
	v_mul_f64 v[14:15], v[124:125], v[130:131]
	v_fma_f64 v[134:135], v[126:127], v[128:129], v[14:15]
	;; [unrolled: 8-line block ×5, first 2 shown]
	ds_write_b128 v0, v[132:135] offset:6912
.LBB0_9:
	s_or_b64 exec, exec, s[2:3]
	s_waitcnt lgkmcnt(0)
	s_barrier
	s_and_saveexec_b64 s[2:3], s[0:1]
	s_cbranch_execz .LBB0_11
; %bb.10:
	ds_read_b128 v[88:91], v160
	ds_read_b128 v[92:95], v160 offset:432
	ds_read_b128 v[96:99], v160 offset:864
	;; [unrolled: 1-line block ×10, first 2 shown]
	s_waitcnt lgkmcnt(0)
	buffer_store_dword v2, off, s[60:63], 0 offset:76 ; 4-byte Folded Spill
	s_nop 0
	buffer_store_dword v3, off, s[60:63], 0 offset:80 ; 4-byte Folded Spill
	buffer_store_dword v4, off, s[60:63], 0 offset:84 ; 4-byte Folded Spill
	buffer_store_dword v5, off, s[60:63], 0 offset:88 ; 4-byte Folded Spill
	ds_read_b128 v[2:5], v160 offset:4752
	s_waitcnt lgkmcnt(0)
	buffer_store_dword v2, off, s[60:63], 0 offset:60 ; 4-byte Folded Spill
	s_nop 0
	buffer_store_dword v3, off, s[60:63], 0 offset:64 ; 4-byte Folded Spill
	buffer_store_dword v4, off, s[60:63], 0 offset:68 ; 4-byte Folded Spill
	buffer_store_dword v5, off, s[60:63], 0 offset:72 ; 4-byte Folded Spill
	ds_read_b128 v[2:5], v160 offset:5184
	s_waitcnt lgkmcnt(0)
	buffer_store_dword v2, off, s[60:63], 0 offset:44 ; 4-byte Folded Spill
	s_nop 0
	buffer_store_dword v3, off, s[60:63], 0 offset:48 ; 4-byte Folded Spill
	buffer_store_dword v4, off, s[60:63], 0 offset:52 ; 4-byte Folded Spill
	buffer_store_dword v5, off, s[60:63], 0 offset:56 ; 4-byte Folded Spill
	ds_read_b128 v[8:11], v160 offset:5616
	ds_read_b128 v[24:27], v160 offset:6048
	ds_read_b128 v[2:5], v160 offset:6480
	s_waitcnt lgkmcnt(0)
	buffer_store_dword v2, off, s[60:63], 0 offset:28 ; 4-byte Folded Spill
	s_nop 0
	buffer_store_dword v3, off, s[60:63], 0 offset:32 ; 4-byte Folded Spill
	buffer_store_dword v4, off, s[60:63], 0 offset:36 ; 4-byte Folded Spill
	;; [unrolled: 1-line block ×3, first 2 shown]
	ds_read_b128 v[2:5], v160 offset:6912
	s_waitcnt lgkmcnt(0)
	buffer_store_dword v2, off, s[60:63], 0 offset:12 ; 4-byte Folded Spill
	s_nop 0
	buffer_store_dword v3, off, s[60:63], 0 offset:16 ; 4-byte Folded Spill
	buffer_store_dword v4, off, s[60:63], 0 offset:20 ; 4-byte Folded Spill
	;; [unrolled: 1-line block ×3, first 2 shown]
.LBB0_11:
	s_or_b64 exec, exec, s[2:3]
	s_waitcnt vmcnt(0)
	s_barrier
	s_and_saveexec_b64 s[2:3], s[0:1]
	s_cbranch_execz .LBB0_13
; %bb.12:
	buffer_store_dword v44, off, s[60:63], 0 offset:136 ; 4-byte Folded Spill
	s_nop 0
	buffer_store_dword v45, off, s[60:63], 0 offset:140 ; 4-byte Folded Spill
	buffer_store_dword v46, off, s[60:63], 0 offset:144 ; 4-byte Folded Spill
	;; [unrolled: 1-line block ×3, first 2 shown]
	buffer_load_dword v40, off, s[60:63], 0 offset:76 ; 4-byte Folded Reload
	buffer_load_dword v41, off, s[60:63], 0 offset:80 ; 4-byte Folded Reload
	;; [unrolled: 1-line block ×4, first 2 shown]
	s_nop 0
	buffer_store_dword v161, off, s[60:63], 0 offset:120 ; 4-byte Folded Spill
	s_nop 0
	buffer_store_dword v162, off, s[60:63], 0 offset:124 ; 4-byte Folded Spill
	buffer_store_dword v163, off, s[60:63], 0 offset:128 ; 4-byte Folded Spill
	;; [unrolled: 1-line block ×3, first 2 shown]
	buffer_load_dword v32, off, s[60:63], 0 offset:12 ; 4-byte Folded Reload
	buffer_load_dword v33, off, s[60:63], 0 offset:16 ; 4-byte Folded Reload
	;; [unrolled: 1-line block ×4, first 2 shown]
	s_nop 0
	buffer_store_dword v36, off, s[60:63], 0 offset:104 ; 4-byte Folded Spill
	s_nop 0
	buffer_store_dword v37, off, s[60:63], 0 offset:108 ; 4-byte Folded Spill
	buffer_store_dword v38, off, s[60:63], 0 offset:112 ; 4-byte Folded Spill
	;; [unrolled: 1-line block ×3, first 2 shown]
	buffer_load_dword v36, off, s[60:63], 0 offset:60 ; 4-byte Folded Reload
	s_nop 0
	buffer_load_dword v37, off, s[60:63], 0 offset:64 ; 4-byte Folded Reload
	buffer_load_dword v38, off, s[60:63], 0 offset:68 ; 4-byte Folded Reload
	;; [unrolled: 1-line block ×7, first 2 shown]
	s_nop 0
	buffer_store_dword v165, off, s[60:63], 0 offset:152 ; 4-byte Folded Spill
	s_nop 0
	buffer_store_dword v166, off, s[60:63], 0 offset:156 ; 4-byte Folded Spill
	buffer_store_dword v167, off, s[60:63], 0 offset:160 ; 4-byte Folded Spill
	;; [unrolled: 1-line block ×3, first 2 shown]
	buffer_load_dword v163, off, s[60:63], 0 offset:28 ; 4-byte Folded Reload
	s_nop 0
	buffer_load_dword v164, off, s[60:63], 0 offset:32 ; 4-byte Folded Reload
	buffer_load_dword v165, off, s[60:63], 0 offset:36 ; 4-byte Folded Reload
	;; [unrolled: 1-line block ×3, first 2 shown]
	s_mov_b32 s20, 0xacd6c6b4
	s_mov_b32 s21, 0xbfc7851a
	;; [unrolled: 1-line block ×6, first 2 shown]
	v_add_f64 v[187:188], v[104:105], -v[24:25]
	s_mov_b32 s26, 0x4363dd80
	s_mov_b32 s22, 0x370991
	v_mov_b32_e32 v47, v31
	s_mov_b32 s27, 0xbfe0d888
	s_mov_b32 s23, 0x3fedd6d0
	v_mov_b32_e32 v46, v30
	v_mov_b32_e32 v45, v29
	;; [unrolled: 1-line block ×3, first 2 shown]
	v_add_f64 v[30:31], v[108:109], -v[8:9]
	v_mul_f64 v[22:23], v[187:188], s[26:27]
	v_add_f64 v[175:176], v[106:107], v[26:27]
	s_mov_b32 s48, 0x2a9d6da3
	s_mov_b32 s18, 0x910ea3b9
	;; [unrolled: 1-line block ×4, first 2 shown]
	v_add_f64 v[171:172], v[110:111], v[10:11]
	v_mul_f64 v[126:127], v[30:31], s[48:49]
	s_mov_b32 s24, 0x75d4884
	v_fma_f64 v[128:129], v[175:176], s[18:19], v[22:23]
	v_mov_b32_e32 v186, v31
	s_mov_b32 s25, 0x3fe7a5f6
	v_mov_b32_e32 v185, v30
	buffer_store_dword v169, off, s[60:63], 0 offset:168 ; 4-byte Folded Spill
	buffer_store_dword v170, off, s[60:63], 0 offset:176 ; 4-byte Folded Spill
	s_mov_b32 s44, 0x7c9e640b
	v_fma_f64 v[130:131], v[171:172], s[24:25], v[126:127]
	s_mov_b32 s28, 0x6ed5f1bb
	s_mov_b32 s45, 0x3feca52d
	;; [unrolled: 1-line block ×5, first 2 shown]
	v_add_f64 v[179:180], v[110:111], -v[10:11]
	v_add_f64 v[189:190], v[104:105], v[24:25]
	v_add_f64 v[201:202], v[108:109], v[8:9]
	v_fma_f64 v[22:23], v[175:176], s[18:19], -v[22:23]
	s_mov_b32 s10, 0x923c349f
	s_mov_b32 s11, 0xbfeec746
	v_add_f64 v[209:210], v[102:103], -v[46:47]
	v_fma_f64 v[126:127], v[171:172], s[24:25], -v[126:127]
	v_mul_f64 v[142:143], v[179:180], s[48:49]
	s_mov_b32 s52, 0xeb564b22
	s_mov_b32 s34, 0xc61f0d01
	;; [unrolled: 1-line block ×4, first 2 shown]
	v_add_f64 v[207:208], v[100:101], v[44:45]
	s_mov_b32 s8, 0x3259b75e
	s_mov_b32 s9, 0x3fb79ee6
	v_fma_f64 v[146:147], v[201:202], s[24:25], -v[142:143]
	v_fma_f64 v[142:143], v[201:202], s[24:25], v[142:143]
	s_mov_b32 s43, 0xbfefdd0d
	s_mov_b32 s42, s52
	v_add_f64 v[2:3], v[100:101], -v[44:45]
	v_mul_f64 v[152:153], v[187:188], s[42:43]
	s_mov_b32 s57, 0x3fe9895b
	s_mov_b32 s56, s30
	v_add_f64 v[161:162], v[102:103], v[46:47]
	s_mov_b32 s39, 0xbfd71e95
	s_mov_b32 s38, s40
	;; [unrolled: 1-line block ×3, first 2 shown]
	v_mul_f64 v[12:13], v[2:3], s[52:53]
	v_fma_f64 v[227:228], v[175:176], s[8:9], v[152:153]
	v_fma_f64 v[152:153], v[175:176], s[8:9], -v[152:153]
	s_mov_b32 s54, s10
	s_mov_b32 s47, 0xbfe58eea
	;; [unrolled: 1-line block ×4, first 2 shown]
	s_waitcnt vmcnt(32)
	v_add_f64 v[4:5], v[116:117], -v[40:41]
	s_waitcnt vmcnt(30)
	v_add_f64 v[213:214], v[118:119], -v[42:43]
	;; [unrolled: 2-line block ×3, first 2 shown]
	s_waitcnt vmcnt(22)
	v_add_f64 v[177:178], v[94:95], v[34:35]
	s_waitcnt vmcnt(16)
	v_add_f64 v[6:7], v[112:113], -v[36:37]
	s_waitcnt vmcnt(12)
	v_add_f64 v[28:29], v[120:121], -v[203:204]
	s_waitcnt vmcnt(10)
	v_add_f64 v[169:170], v[122:123], v[205:206]
	s_waitcnt vmcnt(4)
	v_add_f64 v[221:222], v[96:97], -v[163:164]
	s_waitcnt vmcnt(2)
	v_add_f64 v[173:174], v[98:99], v[165:166]
	v_add_f64 v[30:31], v[94:95], -v[34:35]
	v_mul_f64 v[16:17], v[223:224], s[20:21]
	v_add_f64 v[167:168], v[114:115], v[38:39]
	v_add_f64 v[193:194], v[92:93], v[32:33]
	v_mov_b32_e32 v184, v29
	v_mov_b32_e32 v183, v28
	v_mul_f64 v[18:19], v[221:222], s[40:41]
	v_add_f64 v[191:192], v[96:97], v[163:164]
	v_mov_b32_e32 v196, v31
	v_fma_f64 v[20:21], v[177:178], s[16:17], v[16:17]
	v_mov_b32_e32 v195, v30
	v_add_f64 v[199:200], v[122:123], -v[205:206]
	v_fma_f64 v[16:17], v[177:178], s[16:17], -v[16:17]
	v_add_f64 v[219:220], v[114:115], -v[38:39]
	v_fma_f64 v[124:125], v[173:174], s[22:23], v[18:19]
	v_fma_f64 v[18:19], v[173:174], s[22:23], -v[18:19]
	v_add_f64 v[217:218], v[120:121], v[203:204]
	v_add_f64 v[20:21], v[90:91], v[20:21]
	;; [unrolled: 1-line block ×3, first 2 shown]
	v_mul_f64 v[14:15], v[4:5], s[10:11]
	v_add_f64 v[16:17], v[90:91], v[16:17]
	v_add_f64 v[181:182], v[118:119], v[42:43]
	;; [unrolled: 1-line block ×3, first 2 shown]
	s_mov_b32 s58, s26
	s_mov_b32 s51, 0xbfeca52d
	v_add_f64 v[20:21], v[124:125], v[20:21]
	v_mul_f64 v[124:125], v[28:29], s[30:31]
	v_add_f64 v[28:29], v[98:99], -v[165:166]
	v_add_f64 v[16:17], v[18:19], v[16:17]
	v_mul_f64 v[18:19], v[219:220], s[44:45]
	v_fma_f64 v[138:139], v[181:182], s[34:35], v[14:15]
	v_fma_f64 v[14:15], v[181:182], s[34:35], -v[14:15]
	s_mov_b32 s50, s44
	v_add_f64 v[20:21], v[128:129], v[20:21]
	v_mul_f64 v[128:129], v[6:7], s[44:45]
	v_fma_f64 v[132:133], v[169:170], s[28:29], v[124:125]
	v_add_f64 v[16:17], v[22:23], v[16:17]
	v_mul_f64 v[22:23], v[213:214], s[10:11]
	v_mov_b32_e32 v198, v29
	v_mov_b32_e32 v197, v28
	v_fma_f64 v[124:125], v[169:170], s[28:29], -v[124:125]
	v_add_f64 v[20:21], v[130:131], v[20:21]
	v_mul_f64 v[130:131], v[30:31], s[20:21]
	v_fma_f64 v[134:135], v[167:168], s[36:37], v[128:129]
	v_add_f64 v[30:31], v[106:107], -v[26:27]
	v_add_f64 v[16:17], v[126:127], v[16:17]
	v_fma_f64 v[126:127], v[211:212], s[34:35], -v[22:23]
	v_mul_f64 v[148:149], v[197:198], s[44:45]
	v_fma_f64 v[128:129], v[167:168], s[36:37], -v[128:129]
	v_add_f64 v[20:21], v[132:133], v[20:21]
	v_mul_f64 v[132:133], v[28:29], s[40:41]
	v_fma_f64 v[136:137], v[193:194], s[16:17], -v[130:131]
	v_fma_f64 v[130:131], v[193:194], s[16:17], v[130:131]
	v_mov_b32_e32 v238, v31
	v_mov_b32_e32 v237, v30
	v_add_f64 v[16:17], v[124:125], v[16:17]
	v_mul_f64 v[156:157], v[237:238], s[42:43]
	v_add_f64 v[20:21], v[134:135], v[20:21]
	v_mul_f64 v[134:135], v[30:31], s[26:27]
	v_fma_f64 v[140:141], v[191:192], s[22:23], -v[132:133]
	v_add_f64 v[136:137], v[88:89], v[136:137]
	v_fma_f64 v[132:133], v[191:192], s[22:23], v[132:133]
	v_add_f64 v[130:131], v[88:89], v[130:131]
	v_fma_f64 v[158:159], v[191:192], s[36:37], -v[148:149]
	v_fma_f64 v[148:149], v[191:192], s[36:37], v[148:149]
	v_add_f64 v[20:21], v[138:139], v[20:21]
	v_fma_f64 v[144:145], v[189:190], s[18:19], -v[134:135]
	v_fma_f64 v[134:135], v[189:190], s[18:19], v[134:135]
	v_add_f64 v[136:137], v[140:141], v[136:137]
	v_mul_f64 v[140:141], v[199:200], s[30:31]
	v_add_f64 v[130:131], v[132:133], v[130:131]
	v_fma_f64 v[132:133], v[215:216], s[36:37], -v[18:19]
	v_fma_f64 v[124:125], v[161:162], s[8:9], v[12:13]
	v_add_f64 v[16:17], v[128:129], v[16:17]
	v_mul_f64 v[128:129], v[183:184], s[38:39]
	v_fma_f64 v[229:230], v[189:190], s[8:9], -v[156:157]
	v_add_f64 v[136:137], v[144:145], v[136:137]
	v_fma_f64 v[144:145], v[217:218], s[28:29], -v[140:141]
	v_add_f64 v[130:131], v[134:135], v[130:131]
	v_mul_f64 v[134:135], v[209:210], s[52:53]
	v_fma_f64 v[18:19], v[215:216], s[36:37], v[18:19]
	v_add_f64 v[30:31], v[124:125], v[20:21]
	v_fma_f64 v[20:21], v[211:212], s[34:35], v[22:23]
	v_mul_f64 v[22:23], v[6:7], s[20:21]
	v_add_f64 v[136:137], v[146:147], v[136:137]
	v_mul_f64 v[146:147], v[185:186], s[56:57]
	v_add_f64 v[130:131], v[142:143], v[130:131]
	v_fma_f64 v[138:139], v[207:208], s[8:9], -v[134:135]
	v_mul_f64 v[142:143], v[221:222], s[44:45]
	v_add_f64 v[14:15], v[14:15], v[16:17]
	v_mul_f64 v[16:17], v[4:5], s[48:49]
	v_fma_f64 v[12:13], v[161:162], s[8:9], -v[12:13]
	v_add_f64 v[136:137], v[144:145], v[136:137]
	v_fma_f64 v[225:226], v[171:172], s[28:29], v[146:147]
	v_fma_f64 v[146:147], v[171:172], s[28:29], -v[146:147]
	v_mul_f64 v[239:240], v[199:200], s[20:21]
	v_fma_f64 v[154:155], v[173:174], s[36:37], v[142:143]
	v_fma_f64 v[142:143], v[173:174], s[36:37], -v[142:143]
	v_mul_f64 v[245:246], v[219:220], s[26:27]
	v_add_f64 v[14:15], v[12:13], v[14:15]
	v_add_f64 v[132:133], v[132:133], v[136:137]
	v_fma_f64 v[136:137], v[217:218], s[28:29], v[140:141]
	v_fma_f64 v[140:141], v[169:170], s[22:23], v[128:129]
	v_fma_f64 v[128:129], v[169:170], s[22:23], -v[128:129]
	v_fma_f64 v[243:244], v[217:218], s[16:17], -v[239:240]
	v_mul_f64 v[247:248], v[213:214], s[56:57]
	v_mov_b32_e32 v125, v7
	v_mov_b32_e32 v124, v6
	v_add_f64 v[132:133], v[126:127], v[132:133]
	v_add_f64 v[130:131], v[136:137], v[130:131]
	v_fma_f64 v[136:137], v[167:168], s[16:17], v[22:23]
	v_fma_f64 v[22:23], v[167:168], s[16:17], -v[22:23]
	v_mov_b32_e32 v127, v5
	v_mov_b32_e32 v126, v4
	v_add_f64 v[94:95], v[90:91], v[94:95]
	v_add_f64 v[92:93], v[88:89], v[92:93]
	;; [unrolled: 1-line block ×3, first 2 shown]
	v_mul_f64 v[132:133], v[223:224], s[26:27]
	v_mul_f64 v[138:139], v[195:196], s[26:27]
	v_add_f64 v[18:19], v[18:19], v[130:131]
	v_fma_f64 v[130:131], v[207:208], s[8:9], v[134:135]
	v_fma_f64 v[134:135], v[181:182], s[24:25], v[16:17]
	buffer_store_dword v28, off, s[60:63], 0 offset:184 ; 4-byte Folded Spill
	s_nop 0
	buffer_store_dword v29, off, s[60:63], 0 offset:188 ; 4-byte Folded Spill
	buffer_store_dword v30, off, s[60:63], 0 offset:192 ; 4-byte Folded Spill
	;; [unrolled: 1-line block ×3, first 2 shown]
	v_fma_f64 v[144:145], v[177:178], s[18:19], v[132:133]
	v_fma_f64 v[150:151], v[193:194], s[18:19], -v[138:139]
	v_fma_f64 v[132:133], v[177:178], s[18:19], -v[132:133]
	v_fma_f64 v[138:139], v[193:194], s[18:19], v[138:139]
	v_add_f64 v[18:19], v[20:21], v[18:19]
	v_mul_f64 v[20:21], v[2:3], s[10:11]
	v_fma_f64 v[16:17], v[181:182], s[24:25], -v[16:17]
	v_mov_b32_e32 v31, v3
	v_add_f64 v[144:145], v[90:91], v[144:145]
	v_add_f64 v[150:151], v[88:89], v[150:151]
	;; [unrolled: 1-line block ×5, first 2 shown]
	buffer_store_dword v12, off, s[60:63], 0 offset:216 ; 4-byte Folded Spill
	s_nop 0
	buffer_store_dword v13, off, s[60:63], 0 offset:220 ; 4-byte Folded Spill
	buffer_store_dword v14, off, s[60:63], 0 offset:224 ; 4-byte Folded Spill
	;; [unrolled: 1-line block ×3, first 2 shown]
	v_add_f64 v[144:145], v[154:155], v[144:145]
	v_mul_f64 v[154:155], v[179:180], s[56:57]
	v_add_f64 v[150:151], v[158:159], v[150:151]
	v_add_f64 v[132:133], v[142:143], v[132:133]
	v_fma_f64 v[142:143], v[189:190], s[8:9], v[156:157]
	v_add_f64 v[138:139], v[148:149], v[138:139]
	v_mul_f64 v[158:159], v[199:200], s[38:39]
	v_mul_f64 v[148:149], v[219:220], s[20:21]
	v_add_f64 v[144:145], v[227:228], v[144:145]
	v_fma_f64 v[227:228], v[201:202], s[28:29], -v[154:155]
	v_add_f64 v[150:151], v[229:230], v[150:151]
	v_add_f64 v[132:133], v[152:153], v[132:133]
	v_fma_f64 v[152:153], v[201:202], s[28:29], v[154:155]
	v_add_f64 v[138:139], v[142:143], v[138:139]
	v_fma_f64 v[156:157], v[217:218], s[22:23], -v[158:159]
	v_mul_f64 v[142:143], v[213:214], s[48:49]
	v_add_f64 v[144:145], v[225:226], v[144:145]
	v_mov_b32_e32 v30, v2
	v_add_f64 v[150:151], v[227:228], v[150:151]
	v_add_f64 v[132:133], v[146:147], v[132:133]
	v_fma_f64 v[146:147], v[217:218], s[22:23], v[158:159]
	v_add_f64 v[138:139], v[152:153], v[138:139]
	v_mul_f64 v[158:159], v[187:188], s[38:39]
	v_fma_f64 v[152:153], v[211:212], s[24:25], -v[142:143]
	v_add_f64 v[140:141], v[140:141], v[144:145]
	v_fma_f64 v[144:145], v[215:216], s[16:17], -v[148:149]
	v_add_f64 v[150:151], v[156:157], v[150:151]
	v_add_f64 v[128:129], v[128:129], v[132:133]
	v_fma_f64 v[132:133], v[215:216], s[16:17], v[148:149]
	v_add_f64 v[138:139], v[146:147], v[138:139]
	v_fma_f64 v[146:147], v[161:162], s[34:35], v[20:21]
	v_fma_f64 v[142:143], v[211:212], s[24:25], v[142:143]
	v_add_f64 v[136:137], v[136:137], v[140:141]
	v_mul_f64 v[140:141], v[209:210], s[10:11]
	v_add_f64 v[144:145], v[144:145], v[150:151]
	v_mul_f64 v[227:228], v[237:238], s[38:39]
	v_add_f64 v[22:23], v[22:23], v[128:129]
	v_add_f64 v[138:139], v[132:133], v[138:139]
	v_mov_b32_e32 v128, v185
	v_mov_b32_e32 v129, v186
	v_add_f64 v[136:137], v[134:135], v[136:137]
	v_fma_f64 v[148:149], v[207:208], s[34:35], -v[140:141]
	v_add_f64 v[144:145], v[152:153], v[144:145]
	v_mov_b32_e32 v134, v197
	v_mov_b32_e32 v135, v198
	v_add_f64 v[18:19], v[142:143], v[138:139]
	v_mul_f64 v[142:143], v[195:196], s[30:31]
	v_mul_f64 v[152:153], v[134:135], s[54:55]
	v_add_f64 v[14:15], v[146:147], v[136:137]
	v_mul_f64 v[136:137], v[223:224], s[30:31]
	v_add_f64 v[12:13], v[148:149], v[144:145]
	v_mul_f64 v[144:145], v[221:222], s[54:55]
	v_mul_f64 v[231:232], v[128:129], s[26:27]
	v_fma_f64 v[233:234], v[175:176], s[22:23], v[158:159]
	v_fma_f64 v[154:155], v[193:194], s[28:29], -v[142:143]
	v_fma_f64 v[229:230], v[191:192], s[34:35], -v[152:153]
	;; [unrolled: 1-line block ×3, first 2 shown]
	v_fma_f64 v[148:149], v[177:178], s[28:29], v[136:137]
	v_fma_f64 v[136:137], v[177:178], s[28:29], -v[136:137]
	v_fma_f64 v[225:226], v[173:174], s[34:35], v[144:145]
	v_fma_f64 v[144:145], v[173:174], s[34:35], -v[144:145]
	buffer_store_dword v12, off, s[60:63], 0 offset:200 ; 4-byte Folded Spill
	s_nop 0
	buffer_store_dword v13, off, s[60:63], 0 offset:204 ; 4-byte Folded Spill
	buffer_store_dword v14, off, s[60:63], 0 offset:208 ; 4-byte Folded Spill
	;; [unrolled: 1-line block ×3, first 2 shown]
	v_add_f64 v[154:155], v[88:89], v[154:155]
	v_add_f64 v[14:15], v[16:17], v[22:23]
	v_fma_f64 v[16:17], v[207:208], s[34:35], v[140:141]
	v_add_f64 v[148:149], v[90:91], v[148:149]
	v_add_f64 v[136:137], v[90:91], v[136:137]
	v_mul_f64 v[140:141], v[183:184], s[52:53]
	v_fma_f64 v[158:159], v[175:176], s[22:23], -v[158:159]
	v_fma_f64 v[142:143], v[193:194], s[28:29], v[142:143]
	v_add_f64 v[154:155], v[229:230], v[154:155]
	v_fma_f64 v[229:230], v[171:172], s[18:19], v[231:232]
	v_mul_f64 v[138:139], v[6:7], s[46:47]
	v_add_f64 v[148:149], v[225:226], v[148:149]
	v_mul_f64 v[225:226], v[179:180], s[26:27]
	v_add_f64 v[136:137], v[144:145], v[136:137]
	v_fma_f64 v[156:157], v[169:170], s[8:9], v[140:141]
	v_fma_f64 v[231:232], v[171:172], s[18:19], -v[231:232]
	v_add_f64 v[154:155], v[235:236], v[154:155]
	v_fma_f64 v[152:153], v[191:192], s[34:35], v[152:153]
	v_add_f64 v[142:143], v[88:89], v[142:143]
	v_add_f64 v[144:145], v[233:234], v[148:149]
	v_mul_f64 v[148:149], v[199:200], s[52:53]
	v_fma_f64 v[233:234], v[201:202], s[18:19], -v[225:226]
	v_add_f64 v[136:137], v[158:159], v[136:137]
	v_mul_f64 v[158:159], v[219:220], s[46:47]
	v_mul_f64 v[22:23], v[4:5], s[20:21]
	v_fma_f64 v[150:151], v[167:168], s[24:25], v[138:139]
	v_fma_f64 v[140:141], v[169:170], s[8:9], -v[140:141]
	v_add_f64 v[144:145], v[229:230], v[144:145]
	v_fma_f64 v[229:230], v[217:218], s[8:9], -v[148:149]
	v_add_f64 v[154:155], v[233:234], v[154:155]
	v_fma_f64 v[227:228], v[189:190], s[22:23], v[227:228]
	v_add_f64 v[142:143], v[152:153], v[142:143]
	v_add_f64 v[136:137], v[231:232], v[136:137]
	v_mul_f64 v[152:153], v[213:214], s[20:21]
	v_fma_f64 v[12:13], v[161:162], s[34:35], -v[20:21]
	v_add_f64 v[144:145], v[156:157], v[144:145]
	v_fma_f64 v[156:157], v[215:216], s[24:25], -v[158:159]
	v_add_f64 v[154:155], v[229:230], v[154:155]
	v_mul_f64 v[20:21], v[2:3], s[44:45]
	v_fma_f64 v[146:147], v[181:182], s[16:17], v[22:23]
	v_fma_f64 v[138:139], v[167:168], s[24:25], -v[138:139]
	v_fma_f64 v[225:226], v[201:202], s[18:19], v[225:226]
	v_add_f64 v[142:143], v[227:228], v[142:143]
	v_add_f64 v[136:137], v[140:141], v[136:137]
	;; [unrolled: 1-line block ×3, first 2 shown]
	v_mul_f64 v[144:145], v[209:210], s[44:45]
	v_fma_f64 v[150:151], v[211:212], s[16:17], -v[152:153]
	v_add_f64 v[154:155], v[156:157], v[154:155]
	v_fma_f64 v[148:149], v[217:218], s[8:9], v[148:149]
	v_fma_f64 v[22:23], v[181:182], s[16:17], -v[22:23]
	v_add_f64 v[142:143], v[225:226], v[142:143]
	v_add_f64 v[136:137], v[138:139], v[136:137]
	v_fma_f64 v[138:139], v[161:162], s[36:37], v[20:21]
	v_add_f64 v[146:147], v[146:147], v[140:141]
	v_fma_f64 v[156:157], v[207:208], s[36:37], -v[144:145]
	v_add_f64 v[150:151], v[150:151], v[154:155]
	v_fma_f64 v[20:21], v[161:162], s[36:37], -v[20:21]
	v_fma_f64 v[154:155], v[215:216], s[24:25], v[158:159]
	v_add_f64 v[148:149], v[148:149], v[142:143]
	v_add_f64 v[142:143], v[12:13], v[14:15]
	;; [unrolled: 1-line block ×6, first 2 shown]
	buffer_store_dword v12, off, s[60:63], 0 offset:232 ; 4-byte Folded Spill
	s_nop 0
	buffer_store_dword v13, off, s[60:63], 0 offset:236 ; 4-byte Folded Spill
	buffer_store_dword v14, off, s[60:63], 0 offset:240 ; 4-byte Folded Spill
	;; [unrolled: 1-line block ×3, first 2 shown]
	v_mul_f64 v[14:15], v[223:224], s[10:11]
	v_add_f64 v[146:147], v[20:21], v[22:23]
	v_mul_f64 v[18:19], v[221:222], s[58:59]
	v_fma_f64 v[20:21], v[207:208], s[36:37], v[144:145]
	v_mul_f64 v[22:23], v[195:196], s[10:11]
	v_fma_f64 v[12:13], v[211:212], s[16:17], v[152:153]
	v_add_f64 v[16:17], v[154:155], v[148:149]
	v_mul_f64 v[150:151], v[187:188], s[48:49]
	v_fma_f64 v[144:145], v[177:178], s[34:35], v[14:15]
	v_mul_f64 v[154:155], v[134:135], s[58:59]
	v_fma_f64 v[152:153], v[173:174], s[18:19], v[18:19]
	v_mov_b32_e32 v132, v237
	v_fma_f64 v[156:157], v[193:194], s[34:35], -v[22:23]
	v_mov_b32_e32 v133, v238
	v_mul_f64 v[158:159], v[128:129], s[50:51]
	v_fma_f64 v[225:226], v[175:176], s[24:25], v[150:151]
	v_add_f64 v[144:145], v[90:91], v[144:145]
	v_mul_f64 v[227:228], v[132:133], s[48:49]
	v_fma_f64 v[229:230], v[191:192], s[18:19], -v[154:155]
	v_fma_f64 v[14:15], v[177:178], s[34:35], -v[14:15]
	v_add_f64 v[156:157], v[88:89], v[156:157]
	v_mul_f64 v[231:232], v[183:184], s[20:21]
	v_fma_f64 v[233:234], v[171:172], s[36:37], v[158:159]
	v_mul_f64 v[235:236], v[179:180], s[50:51]
	v_add_f64 v[144:145], v[152:153], v[144:145]
	v_fma_f64 v[237:238], v[189:190], s[24:25], -v[227:228]
	v_fma_f64 v[18:19], v[173:174], s[18:19], -v[18:19]
	v_add_f64 v[14:15], v[90:91], v[14:15]
	v_add_f64 v[156:157], v[229:230], v[156:157]
	v_fma_f64 v[229:230], v[169:170], s[16:17], v[231:232]
	v_fma_f64 v[150:151], v[175:176], s[24:25], -v[150:151]
	v_fma_f64 v[241:242], v[201:202], s[36:37], -v[235:236]
	v_add_f64 v[144:145], v[225:226], v[144:145]
	v_mul_f64 v[225:226], v[6:7], s[52:53]
	v_fma_f64 v[22:23], v[193:194], s[34:35], v[22:23]
	v_add_f64 v[14:15], v[18:19], v[14:15]
	v_add_f64 v[156:157], v[237:238], v[156:157]
	v_mul_f64 v[148:149], v[4:5], s[38:39]
	v_mul_f64 v[237:238], v[219:220], s[52:53]
	v_fma_f64 v[158:159], v[171:172], s[36:37], -v[158:159]
	v_add_f64 v[144:145], v[233:234], v[144:145]
	v_fma_f64 v[233:234], v[167:168], s[8:9], v[225:226]
	v_fma_f64 v[154:155], v[191:192], s[18:19], v[154:155]
	v_add_f64 v[22:23], v[88:89], v[22:23]
	v_add_f64 v[18:19], v[241:242], v[156:157]
	;; [unrolled: 1-line block ×4, first 2 shown]
	v_mul_f64 v[16:17], v[30:31], s[30:31]
	v_add_f64 v[144:145], v[229:230], v[144:145]
	v_fma_f64 v[152:153], v[181:182], s[22:23], v[148:149]
	v_mul_f64 v[156:157], v[213:214], s[38:39]
	v_fma_f64 v[229:230], v[215:216], s[8:9], -v[237:238]
	v_add_f64 v[18:19], v[243:244], v[18:19]
	v_fma_f64 v[231:232], v[169:170], s[16:17], -v[231:232]
	v_fma_f64 v[227:228], v[189:190], s[24:25], v[227:228]
	v_add_f64 v[22:23], v[154:155], v[22:23]
	v_add_f64 v[144:145], v[233:234], v[144:145]
	;; [unrolled: 1-line block ×3, first 2 shown]
	v_mul_f64 v[233:234], v[209:210], s[30:31]
	v_fma_f64 v[150:151], v[211:212], s[22:23], -v[156:157]
	v_add_f64 v[18:19], v[229:230], v[18:19]
	v_fma_f64 v[154:155], v[161:162], s[28:29], v[16:17]
	v_fma_f64 v[225:226], v[167:168], s[8:9], -v[225:226]
	v_fma_f64 v[229:230], v[201:202], s[36:37], v[235:236]
	v_add_f64 v[152:153], v[152:153], v[144:145]
	v_add_f64 v[22:23], v[227:228], v[22:23]
	;; [unrolled: 1-line block ×3, first 2 shown]
	v_mov_b32_e32 v136, v195
	v_mov_b32_e32 v137, v196
	v_fma_f64 v[158:159], v[207:208], s[28:29], -v[233:234]
	v_add_f64 v[18:19], v[150:151], v[18:19]
	v_add_f64 v[144:145], v[20:21], v[12:13]
	;; [unrolled: 1-line block ×3, first 2 shown]
	v_fma_f64 v[12:13], v[181:182], s[22:23], -v[148:149]
	v_fma_f64 v[20:21], v[217:218], s[16:17], v[239:240]
	v_mul_f64 v[152:153], v[223:224], s[42:43]
	v_add_f64 v[22:23], v[229:230], v[22:23]
	v_add_f64 v[14:15], v[225:226], v[14:15]
	v_mul_f64 v[154:155], v[136:137], s[42:43]
	v_add_f64 v[148:149], v[158:159], v[18:19]
	v_fma_f64 v[18:19], v[215:216], s[8:9], v[237:238]
	v_mul_f64 v[158:159], v[221:222], s[20:21]
	v_mul_f64 v[231:232], v[128:129], s[40:41]
	v_fma_f64 v[225:226], v[177:178], s[8:9], v[152:153]
	v_add_f64 v[20:21], v[20:21], v[22:23]
	v_add_f64 v[12:13], v[12:13], v[14:15]
	v_fma_f64 v[14:15], v[211:212], s[22:23], v[156:157]
	v_mul_f64 v[156:157], v[134:135], s[20:21]
	v_fma_f64 v[227:228], v[193:194], s[8:9], -v[154:155]
	v_mul_f64 v[22:23], v[187:188], s[54:55]
	v_fma_f64 v[229:230], v[173:174], s[16:17], v[158:159]
	v_add_f64 v[225:226], v[90:91], v[225:226]
	v_add_f64 v[18:19], v[18:19], v[20:21]
	v_fma_f64 v[20:21], v[207:208], s[28:29], v[233:234]
	v_mul_f64 v[233:234], v[132:133], s[54:55]
	v_fma_f64 v[235:236], v[191:192], s[16:17], -v[156:157]
	v_add_f64 v[227:228], v[88:89], v[227:228]
	v_fma_f64 v[152:153], v[177:178], s[8:9], -v[152:153]
	v_fma_f64 v[237:238], v[175:176], s[34:35], v[22:23]
	v_add_f64 v[225:226], v[229:230], v[225:226]
	v_mul_f64 v[229:230], v[179:180], s[40:41]
	v_fma_f64 v[158:159], v[173:174], s[16:17], -v[158:159]
	v_fma_f64 v[239:240], v[189:190], s[34:35], -v[233:234]
	v_add_f64 v[14:15], v[14:15], v[18:19]
	v_add_f64 v[227:228], v[235:236], v[227:228]
	;; [unrolled: 1-line block ×3, first 2 shown]
	v_mul_f64 v[18:19], v[183:184], s[50:51]
	v_fma_f64 v[235:236], v[171:172], s[22:23], v[231:232]
	v_add_f64 v[225:226], v[237:238], v[225:226]
	v_mul_f64 v[241:242], v[199:200], s[50:51]
	v_fma_f64 v[243:244], v[201:202], s[22:23], -v[229:230]
	v_fma_f64 v[22:23], v[175:176], s[34:35], -v[22:23]
	v_add_f64 v[227:228], v[239:240], v[227:228]
	v_add_f64 v[152:153], v[158:159], v[152:153]
	v_mul_f64 v[237:238], v[6:7], s[26:27]
	v_fma_f64 v[239:240], v[169:170], s[36:37], v[18:19]
	v_add_f64 v[225:226], v[235:236], v[225:226]
	v_fma_f64 v[158:159], v[217:218], s[36:37], -v[241:242]
	v_fma_f64 v[231:232], v[171:172], s[22:23], -v[231:232]
	v_fma_f64 v[154:155], v[193:194], s[8:9], v[154:155]
	v_add_f64 v[227:228], v[243:244], v[227:228]
	v_add_f64 v[22:23], v[22:23], v[152:153]
	v_fma_f64 v[16:17], v[161:162], s[28:29], -v[16:17]
	v_mul_f64 v[235:236], v[4:5], s[56:57]
	v_fma_f64 v[243:244], v[167:168], s[18:19], v[237:238]
	v_add_f64 v[225:226], v[239:240], v[225:226]
	v_fma_f64 v[152:153], v[215:216], s[18:19], -v[245:246]
	v_fma_f64 v[18:19], v[169:170], s[36:37], -v[18:19]
	v_add_f64 v[158:159], v[158:159], v[227:228]
	v_add_f64 v[22:23], v[231:232], v[22:23]
	v_fma_f64 v[156:157], v[191:192], s[16:17], v[156:157]
	v_add_f64 v[154:155], v[88:89], v[154:155]
	v_fma_f64 v[227:228], v[181:182], s[28:29], v[235:236]
	v_add_f64 v[225:226], v[243:244], v[225:226]
	v_mul_f64 v[231:232], v[209:210], s[48:49]
	v_fma_f64 v[243:244], v[211:212], s[28:29], -v[247:248]
	v_add_f64 v[152:153], v[152:153], v[158:159]
	v_fma_f64 v[237:238], v[167:168], s[18:19], -v[237:238]
	v_add_f64 v[18:19], v[18:19], v[22:23]
	v_add_f64 v[158:159], v[16:17], v[12:13]
	v_fma_f64 v[12:13], v[189:190], s[34:35], v[233:234]
	v_add_f64 v[16:17], v[156:157], v[154:155]
	v_mul_f64 v[239:240], v[30:31], s[48:49]
	v_add_f64 v[22:23], v[227:228], v[225:226]
	v_fma_f64 v[225:226], v[207:208], s[24:25], -v[231:232]
	v_add_f64 v[152:153], v[243:244], v[152:153]
	v_fma_f64 v[227:228], v[181:182], s[28:29], -v[235:236]
	v_add_f64 v[18:19], v[237:238], v[18:19]
	v_add_f64 v[156:157], v[20:21], v[14:15]
	v_fma_f64 v[14:15], v[201:202], s[22:23], v[229:230]
	v_mul_f64 v[20:21], v[223:224], s[50:51]
	v_add_f64 v[12:13], v[12:13], v[16:17]
	v_mul_f64 v[229:230], v[136:137], s[50:51]
	v_fma_f64 v[249:250], v[161:162], s[24:25], v[239:240]
	v_add_f64 v[152:153], v[225:226], v[152:153]
	v_add_f64 v[18:19], v[227:228], v[18:19]
	v_fma_f64 v[225:226], v[217:218], s[36:37], v[241:242]
	v_mul_f64 v[227:228], v[221:222], s[30:31]
	v_fma_f64 v[233:234], v[177:178], s[36:37], v[20:21]
	v_add_f64 v[12:13], v[14:15], v[12:13]
	v_mul_f64 v[14:15], v[134:135], s[30:31]
	v_fma_f64 v[235:236], v[193:194], s[36:37], -v[229:230]
	s_mov_b32 s53, 0x3fc7851a
	s_mov_b32 s52, s20
	v_add_f64 v[154:155], v[249:250], v[22:23]
	v_fma_f64 v[16:17], v[161:162], s[24:25], -v[239:240]
	v_fma_f64 v[22:23], v[215:216], s[18:19], v[245:246]
	v_mul_f64 v[237:238], v[187:188], s[52:53]
	v_fma_f64 v[239:240], v[173:174], s[28:29], v[227:228]
	v_add_f64 v[233:234], v[90:91], v[233:234]
	v_add_f64 v[12:13], v[225:226], v[12:13]
	v_mul_f64 v[241:242], v[132:133], s[52:53]
	v_fma_f64 v[243:244], v[191:192], s[28:29], -v[14:15]
	v_add_f64 v[235:236], v[88:89], v[235:236]
	v_fma_f64 v[225:226], v[211:212], s[28:29], v[247:248]
	v_mul_f64 v[245:246], v[128:129], s[54:55]
	v_fma_f64 v[247:248], v[175:176], s[16:17], v[237:238]
	v_add_f64 v[233:234], v[239:240], v[233:234]
	v_add_f64 v[12:13], v[22:23], v[12:13]
	v_mul_f64 v[22:23], v[179:180], s[54:55]
	v_fma_f64 v[239:240], v[189:190], s[16:17], -v[241:242]
	v_fma_f64 v[20:21], v[177:178], s[36:37], -v[20:21]
	v_add_f64 v[235:236], v[243:244], v[235:236]
	v_mul_f64 v[243:244], v[183:184], s[48:49]
	v_fma_f64 v[249:250], v[171:172], s[34:35], v[245:246]
	v_add_f64 v[233:234], v[247:248], v[233:234]
	v_mul_f64 v[247:248], v[199:200], s[48:49]
	v_fma_f64 v[251:252], v[201:202], s[34:35], -v[22:23]
	v_fma_f64 v[227:228], v[173:174], s[28:29], -v[227:228]
	v_add_f64 v[20:21], v[90:91], v[20:21]
	v_add_f64 v[235:236], v[239:240], v[235:236]
	v_mul_f64 v[239:240], v[124:125], s[38:39]
	v_fma_f64 v[253:254], v[169:170], s[24:25], v[243:244]
	v_add_f64 v[233:234], v[249:250], v[233:234]
	v_mul_f64 v[249:250], v[219:220], s[38:39]
	v_fma_f64 v[6:7], v[217:218], s[24:25], -v[247:248]
	v_fma_f64 v[237:238], v[175:176], s[16:17], -v[237:238]
	v_add_f64 v[20:21], v[227:228], v[20:21]
	v_add_f64 v[227:228], v[251:252], v[235:236]
	v_fma_f64 v[251:252], v[167:168], s[22:23], v[239:240]
	v_fma_f64 v[245:246], v[171:172], s[34:35], -v[245:246]
	v_add_f64 v[233:234], v[253:254], v[233:234]
	v_mul_f64 v[253:254], v[213:214], s[42:43]
	v_fma_f64 v[2:3], v[215:216], s[22:23], -v[249:250]
	v_mov_b32_e32 v198, v11
	v_add_f64 v[20:21], v[237:238], v[20:21]
	v_add_f64 v[6:7], v[6:7], v[227:228]
	v_mul_f64 v[235:236], v[4:5], s[42:43]
	v_mov_b32_e32 v197, v10
	v_add_f64 v[233:234], v[251:252], v[233:234]
	v_mul_f64 v[251:252], v[209:210], s[26:27]
	v_mov_b32_e32 v196, v9
	v_mov_b32_e32 v195, v8
	v_fma_f64 v[8:9], v[211:212], s[8:9], -v[253:254]
	v_fma_f64 v[10:11], v[169:170], s[24:25], -v[243:244]
	v_add_f64 v[20:21], v[245:246], v[20:21]
	v_add_f64 v[2:3], v[2:3], v[6:7]
	v_fma_f64 v[6:7], v[207:208], s[24:25], v[231:232]
	v_add_f64 v[12:13], v[225:226], v[12:13]
	v_mov_b32_e32 v139, v31
	v_mov_b32_e32 v138, v30
	v_mul_f64 v[237:238], v[138:139], s[26:27]
	v_fma_f64 v[227:228], v[181:182], s[8:9], v[235:236]
	v_fma_f64 v[243:244], v[207:208], s[18:19], -v[251:252]
	v_fma_f64 v[239:240], v[167:168], s[22:23], -v[239:240]
	v_add_f64 v[10:11], v[10:11], v[20:21]
	v_add_f64 v[2:3], v[8:9], v[2:3]
	v_add_f64 v[225:226], v[6:7], v[12:13]
	v_fma_f64 v[6:7], v[193:194], s[36:37], v[229:230]
	v_fma_f64 v[231:232], v[161:162], s[18:19], v[237:238]
	v_add_f64 v[233:234], v[227:228], v[233:234]
	v_fma_f64 v[8:9], v[181:182], s[8:9], -v[235:236]
	v_mul_f64 v[12:13], v[223:224], s[46:47]
	v_add_f64 v[10:11], v[239:240], v[10:11]
	v_add_f64 v[229:230], v[243:244], v[2:3]
	v_fma_f64 v[2:3], v[191:192], s[28:29], v[14:15]
	v_mul_f64 v[14:15], v[136:137], s[46:47]
	v_add_f64 v[6:7], v[88:89], v[6:7]
	v_add_f64 v[227:228], v[16:17], v[18:19]
	v_add_f64 v[231:232], v[231:232], v[233:234]
	v_fma_f64 v[16:17], v[161:162], s[18:19], -v[237:238]
	v_mul_f64 v[18:19], v[221:222], s[42:43]
	v_fma_f64 v[20:21], v[177:178], s[24:25], v[12:13]
	v_add_f64 v[8:9], v[8:9], v[10:11]
	v_fma_f64 v[10:11], v[189:190], s[16:17], v[241:242]
	v_mul_f64 v[237:238], v[134:135], s[42:43]
	v_fma_f64 v[233:234], v[193:194], s[24:25], -v[14:15]
	v_add_f64 v[2:3], v[2:3], v[6:7]
	v_mul_f64 v[6:7], v[187:188], s[30:31]
	v_fma_f64 v[235:236], v[173:174], s[8:9], v[18:19]
	v_add_f64 v[20:21], v[90:91], v[20:21]
	v_fma_f64 v[22:23], v[201:202], s[34:35], v[22:23]
	v_mul_f64 v[239:240], v[132:133], s[30:31]
	v_fma_f64 v[241:242], v[191:192], s[8:9], -v[237:238]
	v_add_f64 v[233:234], v[88:89], v[233:234]
	v_add_f64 v[2:3], v[10:11], v[2:3]
	v_mul_f64 v[10:11], v[128:129], s[20:21]
	v_fma_f64 v[243:244], v[175:176], s[28:29], v[6:7]
	v_add_f64 v[20:21], v[235:236], v[20:21]
	v_fma_f64 v[235:236], v[217:218], s[24:25], v[247:248]
	v_mul_f64 v[245:246], v[179:180], s[20:21]
	v_fma_f64 v[247:248], v[189:190], s[28:29], -v[239:240]
	v_add_f64 v[233:234], v[241:242], v[233:234]
	v_add_f64 v[2:3], v[22:23], v[2:3]
	v_mov_b32_e32 v130, v183
	v_mul_f64 v[22:23], v[183:184], s[58:59]
	v_mov_b32_e32 v131, v184
	v_mov_b32_e32 v186, v27
	v_fma_f64 v[241:242], v[171:172], s[16:17], v[10:11]
	v_add_f64 v[20:21], v[243:244], v[20:21]
	v_fma_f64 v[243:244], v[215:216], s[22:23], v[249:250]
	v_mul_f64 v[249:250], v[199:200], s[58:59]
	v_mov_b32_e32 v185, v26
	v_mov_b32_e32 v184, v25
	;; [unrolled: 1-line block ×3, first 2 shown]
	v_fma_f64 v[24:25], v[201:202], s[16:17], -v[245:246]
	v_add_f64 v[26:27], v[247:248], v[233:234]
	v_add_f64 v[2:3], v[235:236], v[2:3]
	v_fma_f64 v[233:234], v[169:170], s[18:19], v[22:23]
	v_add_f64 v[20:21], v[241:242], v[20:21]
	v_fma_f64 v[235:236], v[211:212], s[8:9], v[253:254]
	v_mul_f64 v[241:242], v[219:220], s[54:55]
	v_fma_f64 v[253:254], v[217:218], s[18:19], -v[249:250]
	v_fma_f64 v[12:13], v[177:178], s[24:25], -v[12:13]
	v_add_f64 v[24:25], v[24:25], v[26:27]
	v_add_f64 v[2:3], v[243:244], v[2:3]
	v_mul_f64 v[247:248], v[124:125], s[54:55]
	v_add_f64 v[20:21], v[233:234], v[20:21]
	v_fma_f64 v[233:234], v[207:208], s[18:19], v[251:252]
	v_mul_f64 v[251:252], v[213:214], s[44:45]
	v_fma_f64 v[28:29], v[215:216], s[34:35], -v[241:242]
	v_add_f64 v[12:13], v[90:91], v[12:13]
	v_add_f64 v[24:25], v[253:254], v[24:25]
	;; [unrolled: 1-line block ×4, first 2 shown]
	v_fma_f64 v[8:9], v[173:174], s[8:9], -v[18:19]
	v_mul_f64 v[26:27], v[4:5], s[44:45]
	v_fma_f64 v[243:244], v[167:168], s[34:35], v[247:248]
	v_mul_f64 v[30:31], v[138:139], s[40:41]
	v_fma_f64 v[4:5], v[211:212], s[36:37], -v[251:252]
	v_add_f64 v[24:25], v[28:29], v[24:25]
	v_fma_f64 v[14:15], v[193:194], s[24:25], v[14:15]
	v_fma_f64 v[6:7], v[175:176], s[28:29], -v[6:7]
	v_mul_f64 v[28:29], v[223:224], s[38:39]
	v_add_f64 v[8:9], v[8:9], v[12:13]
	v_fma_f64 v[253:254], v[181:182], s[36:37], v[26:27]
	v_add_f64 v[20:21], v[243:244], v[20:21]
	v_add_f64 v[233:234], v[233:234], v[2:3]
	v_fma_f64 v[2:3], v[161:162], s[22:23], v[30:31]
	v_add_f64 v[4:5], v[4:5], v[24:25]
	v_fma_f64 v[24:25], v[161:162], s[22:23], -v[30:31]
	v_fma_f64 v[30:31], v[191:192], s[8:9], v[237:238]
	v_add_f64 v[14:15], v[88:89], v[14:15]
	v_fma_f64 v[10:11], v[171:172], s[16:17], -v[10:11]
	v_mul_f64 v[221:222], v[221:222], s[46:47]
	v_fma_f64 v[223:224], v[177:178], s[22:23], v[28:29]
	v_add_f64 v[6:7], v[6:7], v[8:9]
	v_add_f64 v[16:17], v[253:254], v[20:21]
	v_fma_f64 v[21:22], v[169:170], s[18:19], -v[22:23]
	v_fma_f64 v[8:9], v[189:190], s[28:29], v[239:240]
	v_add_f64 v[14:15], v[30:31], v[14:15]
	v_mul_f64 v[30:31], v[187:188], s[50:51]
	v_fma_f64 v[187:188], v[173:174], s[24:25], v[221:222]
	v_add_f64 v[223:224], v[90:91], v[223:224]
	v_add_f64 v[6:7], v[10:11], v[6:7]
	;; [unrolled: 1-line block ×4, first 2 shown]
	v_fma_f64 v[12:13], v[167:168], s[34:35], -v[247:248]
	v_add_f64 v[8:9], v[8:9], v[14:15]
	v_mul_f64 v[14:15], v[128:129], s[42:43]
	v_fma_f64 v[96:97], v[175:176], s[36:37], v[30:31]
	v_add_f64 v[98:99], v[187:188], v[223:224]
	v_add_f64 v[6:7], v[21:22], v[6:7]
	;; [unrolled: 1-line block ×4, first 2 shown]
	v_fma_f64 v[26:27], v[181:182], s[36:37], -v[26:27]
	v_fma_f64 v[10:11], v[201:202], s[16:17], v[245:246]
	v_fma_f64 v[104:105], v[171:172], s[8:9], v[14:15]
	;; [unrolled: 1-line block ×3, first 2 shown]
	v_add_f64 v[96:97], v[96:97], v[98:99]
	v_add_f64 v[6:7], v[12:13], v[6:7]
	;; [unrolled: 1-line block ×4, first 2 shown]
	v_fma_f64 v[12:13], v[215:216], s[34:35], v[241:242]
	v_add_f64 v[8:9], v[10:11], v[8:9]
	v_mul_f64 v[108:109], v[136:137], s[38:39]
	v_fma_f64 v[14:15], v[171:172], s[8:9], -v[14:15]
	v_add_f64 v[96:97], v[104:105], v[96:97]
	v_add_f64 v[6:7], v[26:27], v[6:7]
	;; [unrolled: 1-line block ×4, first 2 shown]
	v_fma_f64 v[26:27], v[211:212], s[36:37], v[251:252]
	v_add_f64 v[8:9], v[21:22], v[8:9]
	v_mul_f64 v[110:111], v[219:220], s[30:31]
	v_mul_f64 v[10:11], v[130:131], s[10:11]
	;; [unrolled: 1-line block ×3, first 2 shown]
	v_add_f64 v[92:93], v[24:25], v[6:7]
	v_add_f64 v[6:7], v[94:95], v[114:115]
	;; [unrolled: 1-line block ×3, first 2 shown]
	v_mul_f64 v[114:115], v[179:180], s[42:43]
	v_add_f64 v[8:9], v[12:13], v[8:9]
	v_mul_f64 v[112:113], v[199:200], s[10:11]
	v_fma_f64 v[98:99], v[169:170], s[34:35], v[10:11]
	v_fma_f64 v[106:107], v[167:168], s[28:29], v[21:22]
	v_fma_f64 v[10:11], v[169:170], s[34:35], -v[10:11]
	v_add_f64 v[6:7], v[6:7], v[118:119]
	v_add_f64 v[94:95], v[94:95], v[116:117]
	v_mul_f64 v[116:117], v[134:135], s[46:47]
	v_add_f64 v[25:26], v[26:27], v[8:9]
	v_fma_f64 v[27:28], v[177:178], s[22:23], -v[28:29]
	v_fma_f64 v[118:119], v[173:174], s[24:25], -v[221:222]
	;; [unrolled: 1-line block ×3, first 2 shown]
	v_mul_f64 v[8:9], v[138:139], s[20:21]
	v_add_f64 v[6:7], v[6:7], v[102:103]
	v_add_f64 v[94:95], v[94:95], v[100:101]
	v_fma_f64 v[100:101], v[193:194], s[22:23], v[108:109]
	v_fma_f64 v[108:109], v[193:194], s[22:23], -v[108:109]
	v_mul_f64 v[102:103], v[132:133], s[50:51]
	v_add_f64 v[27:28], v[90:91], v[27:28]
	v_fma_f64 v[90:91], v[191:192], s[24:25], v[116:117]
	v_fma_f64 v[116:117], v[191:192], s[24:25], -v[116:117]
	v_add_f64 v[6:7], v[6:7], v[46:47]
	v_add_f64 v[94:95], v[94:95], v[44:45]
	;; [unrolled: 1-line block ×4, first 2 shown]
	v_fma_f64 v[108:109], v[189:190], s[36:37], v[102:103]
	v_add_f64 v[27:28], v[118:119], v[27:28]
	buffer_load_dword v44, off, s[60:63], 0 offset:136 ; 4-byte Folded Reload
	buffer_load_dword v45, off, s[60:63], 0 offset:140 ; 4-byte Folded Reload
	;; [unrolled: 1-line block ×4, first 2 shown]
	v_fma_f64 v[21:22], v[167:168], s[28:29], -v[21:22]
	v_add_f64 v[6:7], v[6:7], v[42:43]
	v_add_f64 v[94:95], v[94:95], v[40:41]
	v_add_f64 v[90:91], v[90:91], v[100:101]
	v_fma_f64 v[100:101], v[189:190], s[36:37], -v[102:103]
	v_add_f64 v[88:89], v[116:117], v[88:89]
	v_add_f64 v[27:28], v[29:30], v[27:28]
	v_fma_f64 v[29:30], v[201:202], s[8:9], v[114:115]
	v_fma_f64 v[102:103], v[201:202], s[8:9], -v[114:115]
	v_add_f64 v[6:7], v[6:7], v[38:39]
	v_add_f64 v[94:95], v[94:95], v[36:37]
	;; [unrolled: 1-line block ×3, first 2 shown]
	buffer_load_dword v36, off, s[60:63], 0 offset:104 ; 4-byte Folded Reload
	buffer_load_dword v37, off, s[60:63], 0 offset:108 ; 4-byte Folded Reload
	;; [unrolled: 1-line block ×4, first 2 shown]
	v_add_f64 v[88:89], v[100:101], v[88:89]
	v_add_f64 v[14:15], v[14:15], v[27:28]
	v_fma_f64 v[27:28], v[217:218], s[34:35], v[112:113]
	buffer_load_dword v170, off, s[60:63], 0 offset:176 ; 4-byte Folded Reload
	buffer_load_dword v169, off, s[60:63], 0 offset:168 ; 4-byte Folded Reload
	v_add_f64 v[6:7], v[6:7], v[205:206]
	v_add_f64 v[94:95], v[94:95], v[203:204]
	;; [unrolled: 1-line block ×3, first 2 shown]
	v_fma_f64 v[90:91], v[217:218], s[34:35], -v[112:113]
	v_add_f64 v[88:89], v[102:103], v[88:89]
	v_fma_f64 v[100:101], v[161:162], s[16:17], v[8:9]
	v_add_f64 v[17:18], v[2:3], v[16:17]
	v_add_f64 v[96:97], v[98:99], v[96:97]
	;; [unrolled: 1-line block ×5, first 2 shown]
	v_fma_f64 v[29:30], v[215:216], s[28:29], -v[110:111]
	v_add_f64 v[88:89], v[90:91], v[88:89]
	v_mul_f64 v[12:13], v[126:127], s[26:27]
	v_add_f64 v[10:11], v[10:11], v[14:15]
	v_add_f64 v[96:97], v[106:107], v[96:97]
	;; [unrolled: 1-line block ×4, first 2 shown]
	v_mul_f64 v[106:107], v[213:214], s[26:27]
	v_fma_f64 v[14:15], v[215:216], s[28:29], v[110:111]
	v_add_f64 v[29:30], v[29:30], v[88:89]
	v_fma_f64 v[88:89], v[161:162], s[16:17], -v[8:9]
	v_fma_f64 v[98:99], v[181:182], s[18:19], v[12:13]
	v_fma_f64 v[12:13], v[181:182], s[18:19], -v[12:13]
	v_add_f64 v[6:7], v[6:7], v[165:166]
	buffer_load_dword v165, off, s[60:63], 0 offset:152 ; 4-byte Folded Reload
	buffer_load_dword v166, off, s[60:63], 0 offset:156 ; 4-byte Folded Reload
	;; [unrolled: 1-line block ×4, first 2 shown]
	v_add_f64 v[90:91], v[90:91], v[163:164]
	buffer_load_dword v161, off, s[60:63], 0 offset:120 ; 4-byte Folded Reload
	buffer_load_dword v162, off, s[60:63], 0 offset:124 ; 4-byte Folded Reload
	;; [unrolled: 1-line block ×6, first 2 shown]
	v_add_f64 v[10:11], v[21:22], v[10:11]
	v_mul_f64 v[104:105], v[209:210], s[20:21]
	v_fma_f64 v[21:22], v[211:212], s[18:19], v[106:107]
	v_add_f64 v[14:15], v[14:15], v[27:28]
	v_mul_f64 v[243:244], v[209:210], s[40:41]
	v_fma_f64 v[27:28], v[211:212], s[18:19], -v[106:107]
	v_add_f64 v[96:97], v[98:99], v[96:97]
	v_add_f64 v[10:11], v[12:13], v[10:11]
	v_fma_f64 v[94:95], v[207:208], s[16:17], v[104:105]
	v_fma_f64 v[98:99], v[207:208], s[16:17], -v[104:105]
	v_add_f64 v[21:22], v[21:22], v[14:15]
	v_fma_f64 v[23:24], v[207:208], s[22:23], v[243:244]
	v_add_f64 v[13:14], v[6:7], v[34:35]
	v_fma_f64 v[19:20], v[207:208], s[22:23], -v[243:244]
	v_add_f64 v[27:28], v[27:28], v[29:30]
	v_add_f64 v[9:10], v[88:89], v[10:11]
	;; [unrolled: 1-line block ×8, first 2 shown]
	s_waitcnt vmcnt(0)
	v_lshl_add_u32 v2, v3, 4, v2
	ds_write_b128 v2, v[11:14]
	ds_write_b128 v2, v[7:10] offset:16
	ds_write_b128 v2, v[90:93] offset:32
	;; [unrolled: 1-line block ×7, first 2 shown]
	buffer_load_dword v3, off, s[60:63], 0 offset:216 ; 4-byte Folded Reload
	buffer_load_dword v4, off, s[60:63], 0 offset:220 ; 4-byte Folded Reload
	buffer_load_dword v5, off, s[60:63], 0 offset:224 ; 4-byte Folded Reload
	buffer_load_dword v6, off, s[60:63], 0 offset:228 ; 4-byte Folded Reload
	s_waitcnt vmcnt(0)
	ds_write_b128 v2, v[3:6] offset:128
	buffer_load_dword v3, off, s[60:63], 0 offset:184 ; 4-byte Folded Reload
	buffer_load_dword v4, off, s[60:63], 0 offset:188 ; 4-byte Folded Reload
	buffer_load_dword v5, off, s[60:63], 0 offset:192 ; 4-byte Folded Reload
	buffer_load_dword v6, off, s[60:63], 0 offset:196 ; 4-byte Folded Reload
	s_waitcnt vmcnt(0)
	ds_write_b128 v2, v[3:6] offset:144
	;; [unrolled: 6-line block ×4, first 2 shown]
	ds_write_b128 v2, v[148:151] offset:192
	ds_write_b128 v2, v[152:155] offset:208
	;; [unrolled: 1-line block ×5, first 2 shown]
.LBB0_13:
	s_or_b64 exec, exec, s[2:3]
	s_waitcnt lgkmcnt(0)
	s_barrier
	ds_read_b128 v[6:9], v1 offset:2448
	ds_read_b128 v[10:13], v1
	ds_read_b128 v[14:17], v1 offset:816
	ds_read_b128 v[18:21], v1 offset:4896
	;; [unrolled: 1-line block ×4, first 2 shown]
	s_waitcnt lgkmcnt(5)
	v_mul_f64 v[2:3], v[54:55], v[8:9]
	v_mul_f64 v[4:5], v[54:55], v[6:7]
	s_waitcnt lgkmcnt(2)
	v_mul_f64 v[30:31], v[50:51], v[20:21]
	ds_read_b128 v[88:91], v1 offset:3264
	ds_read_b128 v[92:95], v1 offset:4080
	v_mul_f64 v[50:51], v[50:51], v[18:19]
	ds_read_b128 v[96:99], v1 offset:6528
	s_mov_b32 s2, 0xe8584caa
	v_fma_f64 v[2:3], v[52:53], v[6:7], v[2:3]
	v_fma_f64 v[4:5], v[52:53], v[8:9], -v[4:5]
	v_fma_f64 v[8:9], v[48:49], v[18:19], v[30:31]
	s_waitcnt lgkmcnt(2)
	v_mul_f64 v[42:43], v[46:47], v[88:89]
	v_mul_f64 v[54:55], v[46:47], v[90:91]
	;; [unrolled: 1-line block ×4, first 2 shown]
	v_fma_f64 v[20:21], v[48:49], v[20:21], -v[50:51]
	s_waitcnt lgkmcnt(1)
	v_mul_f64 v[30:31], v[167:168], v[94:95]
	s_mov_b32 s3, 0xbfebb67a
	v_add_f64 v[46:47], v[2:3], v[8:9]
	v_fma_f64 v[40:41], v[44:45], v[90:91], -v[42:43]
	v_mul_f64 v[42:43], v[167:168], v[92:93]
	v_fma_f64 v[34:35], v[44:45], v[88:89], v[54:55]
	v_fma_f64 v[48:49], v[36:37], v[22:23], v[6:7]
	v_fma_f64 v[24:25], v[36:37], v[24:25], -v[18:19]
	s_waitcnt lgkmcnt(0)
	v_mul_f64 v[18:19], v[163:164], v[96:97]
	v_mul_f64 v[6:7], v[163:164], v[98:99]
	v_add_f64 v[22:23], v[10:11], v[2:3]
	v_fma_f64 v[32:33], v[165:166], v[92:93], v[30:31]
	v_fma_f64 v[30:31], v[46:47], -0.5, v[10:11]
	v_add_f64 v[46:47], v[4:5], v[20:21]
	v_fma_f64 v[38:39], v[165:166], v[94:95], -v[42:43]
	v_add_f64 v[42:43], v[4:5], -v[20:21]
	v_add_f64 v[4:5], v[12:13], v[4:5]
	v_fma_f64 v[36:37], v[161:162], v[98:99], -v[18:19]
	v_add_f64 v[18:19], v[34:35], v[48:49]
	v_fma_f64 v[44:45], v[161:162], v[96:97], v[6:7]
	v_add_f64 v[6:7], v[22:23], v[8:9]
	v_fma_f64 v[22:23], v[46:47], -0.5, v[12:13]
	v_add_f64 v[2:3], v[2:3], -v[8:9]
	s_mov_b32 s9, 0x3febb67a
	v_add_f64 v[8:9], v[4:5], v[20:21]
	v_add_f64 v[4:5], v[40:41], v[24:25]
	s_mov_b32 s8, s2
	v_add_f64 v[46:47], v[14:15], v[34:35]
	v_fma_f64 v[50:51], v[18:19], -0.5, v[14:15]
	v_add_f64 v[52:53], v[40:41], -v[24:25]
	v_fma_f64 v[10:11], v[42:43], s[2:3], v[30:31]
	v_fma_f64 v[18:19], v[42:43], s[8:9], v[30:31]
	;; [unrolled: 1-line block ×4, first 2 shown]
	v_add_f64 v[2:3], v[32:33], v[44:45]
	v_add_f64 v[42:43], v[38:39], v[36:37]
	;; [unrolled: 1-line block ×3, first 2 shown]
	v_fma_f64 v[4:5], v[4:5], -0.5, v[16:17]
	v_add_f64 v[34:35], v[34:35], -v[48:49]
	v_add_f64 v[14:15], v[46:47], v[48:49]
	v_fma_f64 v[22:23], v[52:53], s[2:3], v[50:51]
	v_fma_f64 v[30:31], v[52:53], s[8:9], v[50:51]
	v_add_f64 v[46:47], v[26:27], v[32:33]
	v_add_f64 v[50:51], v[28:29], v[38:39]
	v_fma_f64 v[2:3], v[2:3], -0.5, v[26:27]
	v_add_f64 v[48:49], v[38:39], -v[36:37]
	v_fma_f64 v[42:43], v[42:43], -0.5, v[28:29]
	v_add_f64 v[52:53], v[32:33], -v[44:45]
	v_add_f64 v[16:17], v[40:41], v[24:25]
	v_fma_f64 v[24:25], v[34:35], s[8:9], v[4:5]
	v_fma_f64 v[32:33], v[34:35], s[2:3], v[4:5]
	v_add_f64 v[26:27], v[46:47], v[44:45]
	v_add_f64 v[28:29], v[50:51], v[36:37]
	v_fma_f64 v[34:35], v[48:49], s[2:3], v[2:3]
	v_fma_f64 v[38:39], v[48:49], s[8:9], v[2:3]
	;; [unrolled: 1-line block ×4, first 2 shown]
	s_barrier
	ds_write_b128 v255, v[6:9]
	ds_write_b128 v255, v[10:13] offset:272
	ds_write_b128 v255, v[18:21] offset:544
	ds_write_b128 v170, v[14:17]
	ds_write_b128 v170, v[22:25] offset:272
	ds_write_b128 v170, v[30:33] offset:544
	ds_write_b128 v169, v[26:29]
	ds_write_b128 v169, v[34:37] offset:272
	ds_write_b128 v169, v[38:41] offset:544
	s_waitcnt lgkmcnt(0)
	s_barrier
	ds_read_b128 v[6:9], v1
	ds_read_b128 v[10:13], v1 offset:816
	ds_read_b128 v[14:17], v1 offset:1632
	;; [unrolled: 1-line block ×5, first 2 shown]
	s_waitcnt lgkmcnt(4)
	v_mul_f64 v[38:39], v[74:75], v[12:13]
	v_mul_f64 v[40:41], v[74:75], v[10:11]
	s_waitcnt lgkmcnt(2)
	v_mul_f64 v[46:47], v[62:63], v[20:21]
	ds_read_b128 v[30:33], v1 offset:4896
	ds_read_b128 v[34:37], v1 offset:5712
	ds_read_b128 v[1:4], v1 offset:6528
	v_mul_f64 v[42:43], v[66:67], v[16:17]
	v_mul_f64 v[44:45], v[66:67], v[14:15]
	s_waitcnt lgkmcnt(3)
	v_mul_f64 v[48:49], v[70:71], v[28:29]
	v_fma_f64 v[10:11], v[72:73], v[10:11], v[38:39]
	v_fma_f64 v[12:13], v[72:73], v[12:13], -v[40:41]
	v_mul_f64 v[38:39], v[62:63], v[18:19]
	v_mul_f64 v[40:41], v[58:59], v[24:25]
	v_fma_f64 v[18:19], v[60:61], v[18:19], v[46:47]
	s_waitcnt lgkmcnt(0)
	v_mul_f64 v[46:47], v[86:87], v[1:2]
	v_fma_f64 v[14:15], v[64:65], v[14:15], v[42:43]
	v_fma_f64 v[16:17], v[64:65], v[16:17], -v[44:45]
	v_mul_f64 v[42:43], v[58:59], v[22:23]
	v_mul_f64 v[44:45], v[86:87], v[3:4]
	v_fma_f64 v[20:21], v[60:61], v[20:21], -v[38:39]
	v_fma_f64 v[22:23], v[56:57], v[22:23], v[40:41]
	v_mul_f64 v[40:41], v[82:83], v[34:35]
	v_fma_f64 v[3:4], v[84:85], v[3:4], -v[46:47]
	v_mul_f64 v[38:39], v[82:83], v[36:37]
	s_mov_b32 s11, 0x3fe491b7
	s_mov_b32 s10, 0x523c161c
	v_fma_f64 v[1:2], v[84:85], v[1:2], v[44:45]
	v_mul_f64 v[44:45], v[78:79], v[30:31]
	v_fma_f64 v[24:25], v[56:57], v[24:25], -v[42:43]
	v_fma_f64 v[36:37], v[80:81], v[36:37], -v[40:41]
	v_add_f64 v[46:47], v[12:13], -v[3:4]
	v_mul_f64 v[42:43], v[78:79], v[32:33]
	v_fma_f64 v[34:35], v[80:81], v[34:35], v[38:39]
	v_fma_f64 v[38:39], v[68:69], v[26:27], v[48:49]
	v_mul_f64 v[26:27], v[70:71], v[26:27]
	v_fma_f64 v[32:33], v[76:77], v[32:33], -v[44:45]
	s_mov_b32 s16, 0x8c811c17
	v_add_f64 v[44:45], v[16:17], -v[36:37]
	v_mul_f64 v[50:51], v[46:47], s[10:11]
	s_mov_b32 s17, 0x3fef838b
	v_add_f64 v[40:41], v[10:11], -v[1:2]
	s_mov_b32 s18, 0xa2cf5039
	v_fma_f64 v[26:27], v[68:69], v[28:29], -v[26:27]
	v_add_f64 v[28:29], v[10:11], v[1:2]
	v_add_f64 v[54:55], v[20:21], -v[32:33]
	s_mov_b32 s8, 0xe8584cab
	v_fma_f64 v[10:11], v[44:45], s[16:17], v[50:51]
	s_mov_b32 s19, 0x3fe8836f
	v_fma_f64 v[30:31], v[76:77], v[30:31], v[42:43]
	v_add_f64 v[42:43], v[14:15], -v[34:35]
	v_mul_f64 v[48:49], v[40:41], s[10:11]
	v_add_f64 v[12:13], v[12:13], v[3:4]
	v_add_f64 v[34:35], v[14:15], v[34:35]
	s_mov_b32 s20, 0x7e0b738b
	v_fma_f64 v[3:4], v[54:55], s[8:9], v[10:11]
	v_fma_f64 v[10:11], v[28:29], s[18:19], v[6:7]
	s_mov_b32 s21, 0x3fc63a1a
	v_add_f64 v[52:53], v[18:19], -v[30:31]
	v_fma_f64 v[1:2], v[42:43], s[16:17], v[48:49]
	v_add_f64 v[36:37], v[16:17], v[36:37]
	v_add_f64 v[18:19], v[18:19], v[30:31]
	v_add_f64 v[20:21], v[20:21], v[32:33]
	v_fma_f64 v[14:15], v[12:13], s[18:19], v[8:9]
	v_add_f64 v[30:31], v[22:23], -v[38:39]
	v_add_f64 v[32:33], v[24:25], -v[26:27]
	v_add_f64 v[48:49], v[22:23], v[38:39]
	v_add_f64 v[50:51], v[24:25], v[26:27]
	v_fma_f64 v[10:11], v[34:35], s[20:21], v[10:11]
	s_mov_b32 s22, 0x748a0bf8
	s_mov_b32 s11, 0xbfe491b7
	;; [unrolled: 1-line block ×3, first 2 shown]
	v_fma_f64 v[14:15], v[36:37], s[20:21], v[14:15]
	v_mul_f64 v[16:17], v[30:31], s[10:11]
	v_mul_f64 v[56:57], v[32:33], s[10:11]
	v_fma_f64 v[58:59], v[48:49], s[18:19], v[6:7]
	v_fma_f64 v[60:61], v[50:51], s[18:19], v[8:9]
	;; [unrolled: 1-line block ×3, first 2 shown]
	v_fma_f64 v[3:4], v[18:19], -0.5, v[10:11]
	s_mov_b32 s24, 0x42522d1b
	s_mov_b32 s25, 0xbfee11f6
	v_fma_f64 v[1:2], v[52:53], s[8:9], v[1:2]
	v_fma_f64 v[10:11], v[20:21], -0.5, v[14:15]
	v_fma_f64 v[14:15], v[40:41], s[16:17], v[16:17]
	v_fma_f64 v[16:17], v[46:47], s[16:17], v[56:57]
	;; [unrolled: 1-line block ×5, first 2 shown]
	s_mov_b32 s2, s8
	v_fma_f64 v[60:61], v[30:31], s[22:23], v[1:2]
	v_fma_f64 v[10:11], v[50:51], s[24:25], v[10:11]
	;; [unrolled: 1-line block ×4, first 2 shown]
	v_fma_f64 v[56:57], v[18:19], -0.5, v[56:57]
	v_fma_f64 v[58:59], v[20:21], -0.5, v[58:59]
	v_add_f64 v[1:2], v[3:4], -v[62:63]
	v_fma_f64 v[68:69], v[36:37], s[18:19], v[8:9]
	v_add_f64 v[70:71], v[6:7], v[18:19]
	v_add_f64 v[3:4], v[60:61], v[10:11]
	v_fma_f64 v[64:65], v[42:43], s[22:23], v[14:15]
	v_fma_f64 v[66:67], v[44:45], s[22:23], v[16:17]
	;; [unrolled: 1-line block ×4, first 2 shown]
	v_add_f64 v[56:57], v[30:31], v[40:41]
	v_fma_f64 v[10:11], v[62:63], 2.0, v[1:2]
	v_add_f64 v[58:59], v[32:33], v[46:47]
	v_mul_f64 v[30:31], v[30:31], s[16:17]
	v_mul_f64 v[32:33], v[32:33], s[16:17]
	v_fma_f64 v[62:63], v[34:35], s[18:19], v[6:7]
	v_add_f64 v[34:35], v[34:35], v[28:29]
	v_add_f64 v[36:37], v[36:37], v[12:13]
	v_add_f64 v[56:57], v[56:57], -v[42:43]
	v_add_f64 v[14:15], v[14:15], -v[66:67]
	;; [unrolled: 1-line block ×3, first 2 shown]
	v_fma_f64 v[30:31], v[42:43], s[10:11], -v[30:31]
	v_fma_f64 v[32:33], v[44:45], s[10:11], -v[32:33]
	v_fma_f64 v[42:43], v[48:49], s[20:21], v[62:63]
	v_fma_f64 v[44:45], v[50:51], s[20:21], v[68:69]
	v_add_f64 v[68:69], v[18:19], v[34:35]
	v_add_f64 v[72:73], v[20:21], v[36:37]
	;; [unrolled: 1-line block ×4, first 2 shown]
	v_fma_f64 v[30:31], v[52:53], s[8:9], v[30:31]
	v_fma_f64 v[32:33], v[54:55], s[8:9], v[32:33]
	v_fma_f64 v[18:19], v[18:19], -0.5, v[42:43]
	v_fma_f64 v[20:21], v[20:21], -0.5, v[44:45]
	v_add_f64 v[36:37], v[50:51], v[36:37]
	v_add_f64 v[22:23], v[22:23], v[68:69]
	v_add_f64 v[24:25], v[24:25], v[72:73]
	v_fma_f64 v[34:35], v[34:35], -0.5, v[70:71]
	v_fma_f64 v[40:41], v[40:41], s[22:23], v[30:31]
	v_fma_f64 v[32:33], v[46:47], s[22:23], v[32:33]
	v_fma_f64 v[28:29], v[28:29], s[24:25], v[18:19]
	v_fma_f64 v[12:13], v[12:13], s[24:25], v[20:21]
	v_fma_f64 v[20:21], v[36:37], -0.5, v[62:63]
	v_add_f64 v[30:31], v[38:39], v[22:23]
	v_add_f64 v[26:27], v[26:27], v[24:25]
	v_mul_f64 v[36:37], v[58:59], s[8:9]
	v_fma_f64 v[18:19], v[58:59], s[2:3], v[34:35]
	v_mul_f64 v[38:39], v[56:57], s[8:9]
	v_add_f64 v[22:23], v[28:29], -v[32:33]
	v_add_f64 v[24:25], v[40:41], v[12:13]
	v_fma_f64 v[20:21], v[56:57], s[8:9], v[20:21]
	v_add_f64 v[16:17], v[64:65], v[16:17]
	v_add_f64 v[6:7], v[6:7], v[30:31]
	;; [unrolled: 1-line block ×3, first 2 shown]
	v_fma_f64 v[30:31], v[36:37], 2.0, v[18:19]
	v_fma_f64 v[26:27], v[66:67], 2.0, v[14:15]
	;; [unrolled: 1-line block ×3, first 2 shown]
	v_fma_f64 v[36:37], v[40:41], -2.0, v[24:25]
	v_fma_f64 v[32:33], v[38:39], -2.0, v[20:21]
	;; [unrolled: 1-line block ×4, first 2 shown]
	ds_write_b128 v160, v[6:9]
	ds_write_b128 v0, v[1:4] offset:816
	ds_write_b128 v0, v[14:17] offset:1632
	;; [unrolled: 1-line block ×8, first 2 shown]
	s_waitcnt lgkmcnt(0)
	s_barrier
	buffer_load_dword v19, off, s[60:63], 0 ; 4-byte Folded Reload
	buffer_load_dword v20, off, s[60:63], 0 offset:4 ; 4-byte Folded Reload
	s_and_b64 s[0:1], exec, s[0:1]
	s_mov_b64 exec, s[0:1]
	s_cbranch_execz .LBB0_15
; %bb.14:
	buffer_load_dword v21, off, s[60:63], 0 offset:92 ; 4-byte Folded Reload
	ds_read_b128 v[5:8], v160
	s_waitcnt vmcnt(2)
	v_mad_u64_u32 v[13:14], s[0:1], s6, v19, 0
	ds_read_b128 v[9:12], v0 offset:432
	s_mul_i32 s3, s5, 0x1b0
	s_mul_i32 s2, s4, 0x1b0
	s_waitcnt vmcnt(0)
	v_lshlrev_b32_e32 v22, 4, v21
	global_load_dwordx4 v[1:4], v22, s[12:13]
	v_mad_u64_u32 v[15:16], s[0:1], s4, v21, 0
	v_mad_u64_u32 v[19:20], s[0:1], s7, v19, v[14:15]
	v_mov_b32_e32 v14, v19
	s_waitcnt vmcnt(0) lgkmcnt(1)
	v_mul_f64 v[17:18], v[7:8], v[3:4]
	v_mul_f64 v[3:4], v[5:6], v[3:4]
	v_fma_f64 v[5:6], v[5:6], v[1:2], v[17:18]
	v_fma_f64 v[3:4], v[1:2], v[7:8], -v[3:4]
	v_mad_u64_u32 v[20:21], s[0:1], s5, v21, v[16:17]
	s_mov_b32 s0, 0x672e4abd
	s_mov_b32 s1, 0x3f61d8f5
	v_lshlrev_b64 v[7:8], 4, v[13:14]
	v_mov_b32_e32 v16, v20
	v_mul_f64 v[1:2], v[5:6], s[0:1]
	v_mul_f64 v[3:4], v[3:4], s[0:1]
	v_mov_b32_e32 v17, s15
	v_lshlrev_b64 v[13:14], 4, v[15:16]
	v_add_co_u32_e32 v5, vcc, s14, v7
	v_addc_co_u32_e32 v6, vcc, v17, v8, vcc
	v_add_co_u32_e32 v5, vcc, v5, v13
	v_addc_co_u32_e32 v6, vcc, v6, v14, vcc
	global_store_dwordx4 v[5:6], v[1:4], off
	global_load_dwordx4 v[1:4], v22, s[12:13] offset:432
	s_mul_hi_u32 s5, s4, 0x1b0
	s_add_i32 s3, s5, s3
	v_add_co_u32_e32 v13, vcc, s2, v5
	s_movk_i32 s4, 0x1000
	s_waitcnt vmcnt(0) lgkmcnt(0)
	v_mul_f64 v[7:8], v[11:12], v[3:4]
	v_mul_f64 v[3:4], v[9:10], v[3:4]
	v_fma_f64 v[7:8], v[9:10], v[1:2], v[7:8]
	v_fma_f64 v[3:4], v[1:2], v[11:12], -v[3:4]
	v_mul_f64 v[1:2], v[7:8], s[0:1]
	v_mul_f64 v[3:4], v[3:4], s[0:1]
	v_mov_b32_e32 v7, s3
	v_addc_co_u32_e32 v14, vcc, v6, v7, vcc
	global_store_dwordx4 v[13:14], v[1:4], off
	global_load_dwordx4 v[1:4], v22, s[12:13] offset:864
	ds_read_b128 v[5:8], v0 offset:864
	ds_read_b128 v[9:12], v0 offset:1296
	s_waitcnt vmcnt(0) lgkmcnt(1)
	v_mul_f64 v[15:16], v[7:8], v[3:4]
	v_mul_f64 v[3:4], v[5:6], v[3:4]
	v_fma_f64 v[5:6], v[5:6], v[1:2], v[15:16]
	v_fma_f64 v[3:4], v[1:2], v[7:8], -v[3:4]
	v_mul_f64 v[1:2], v[5:6], s[0:1]
	v_mul_f64 v[3:4], v[3:4], s[0:1]
	v_mov_b32_e32 v6, s3
	v_add_co_u32_e32 v5, vcc, s2, v13
	v_addc_co_u32_e32 v6, vcc, v14, v6, vcc
	v_add_co_u32_e32 v13, vcc, s2, v5
	global_store_dwordx4 v[5:6], v[1:4], off
	global_load_dwordx4 v[1:4], v22, s[12:13] offset:1296
	s_waitcnt vmcnt(0) lgkmcnt(0)
	v_mul_f64 v[7:8], v[11:12], v[3:4]
	v_mul_f64 v[3:4], v[9:10], v[3:4]
	v_fma_f64 v[7:8], v[9:10], v[1:2], v[7:8]
	v_fma_f64 v[3:4], v[1:2], v[11:12], -v[3:4]
	v_mul_f64 v[1:2], v[7:8], s[0:1]
	v_mul_f64 v[3:4], v[3:4], s[0:1]
	v_mov_b32_e32 v7, s3
	v_addc_co_u32_e32 v14, vcc, v6, v7, vcc
	global_store_dwordx4 v[13:14], v[1:4], off
	global_load_dwordx4 v[1:4], v22, s[12:13] offset:1728
	ds_read_b128 v[5:8], v0 offset:1728
	ds_read_b128 v[9:12], v0 offset:2160
	s_waitcnt vmcnt(0) lgkmcnt(1)
	v_mul_f64 v[15:16], v[7:8], v[3:4]
	v_mul_f64 v[3:4], v[5:6], v[3:4]
	v_fma_f64 v[5:6], v[5:6], v[1:2], v[15:16]
	v_fma_f64 v[3:4], v[1:2], v[7:8], -v[3:4]
	v_mul_f64 v[1:2], v[5:6], s[0:1]
	v_mul_f64 v[3:4], v[3:4], s[0:1]
	v_mov_b32_e32 v6, s3
	v_add_co_u32_e32 v5, vcc, s2, v13
	v_addc_co_u32_e32 v6, vcc, v14, v6, vcc
	v_add_co_u32_e32 v13, vcc, s2, v5
	global_store_dwordx4 v[5:6], v[1:4], off
	global_load_dwordx4 v[1:4], v22, s[12:13] offset:2160
	;; [unrolled: 26-line block ×3, first 2 shown]
	s_waitcnt vmcnt(0) lgkmcnt(0)
	v_mul_f64 v[7:8], v[11:12], v[3:4]
	v_mul_f64 v[3:4], v[9:10], v[3:4]
	v_fma_f64 v[7:8], v[9:10], v[1:2], v[7:8]
	v_fma_f64 v[3:4], v[1:2], v[11:12], -v[3:4]
	v_mul_f64 v[1:2], v[7:8], s[0:1]
	v_mul_f64 v[3:4], v[3:4], s[0:1]
	v_mov_b32_e32 v7, s3
	v_addc_co_u32_e32 v14, vcc, v6, v7, vcc
	global_store_dwordx4 v[13:14], v[1:4], off
	global_load_dwordx4 v[1:4], v22, s[12:13] offset:3456
	ds_read_b128 v[5:8], v0 offset:3456
	ds_read_b128 v[9:12], v0 offset:3888
	s_waitcnt vmcnt(0) lgkmcnt(1)
	v_mul_f64 v[15:16], v[7:8], v[3:4]
	v_mul_f64 v[3:4], v[5:6], v[3:4]
	v_fma_f64 v[5:6], v[5:6], v[1:2], v[15:16]
	v_fma_f64 v[3:4], v[1:2], v[7:8], -v[3:4]
	v_mul_f64 v[1:2], v[5:6], s[0:1]
	v_mul_f64 v[3:4], v[3:4], s[0:1]
	v_mov_b32_e32 v6, s3
	v_add_co_u32_e32 v5, vcc, s2, v13
	v_addc_co_u32_e32 v6, vcc, v14, v6, vcc
	v_mov_b32_e32 v13, s13
	global_store_dwordx4 v[5:6], v[1:4], off
	global_load_dwordx4 v[1:4], v22, s[12:13] offset:3888
	s_waitcnt vmcnt(0) lgkmcnt(0)
	v_mul_f64 v[7:8], v[11:12], v[3:4]
	v_mul_f64 v[3:4], v[9:10], v[3:4]
	v_fma_f64 v[7:8], v[9:10], v[1:2], v[7:8]
	v_fma_f64 v[3:4], v[1:2], v[11:12], -v[3:4]
	v_add_co_u32_e32 v9, vcc, s12, v22
	v_addc_co_u32_e32 v10, vcc, 0, v13, vcc
	v_add_co_u32_e32 v13, vcc, s4, v9
	v_mul_f64 v[1:2], v[7:8], s[0:1]
	v_mul_f64 v[3:4], v[3:4], s[0:1]
	v_addc_co_u32_e32 v14, vcc, 0, v10, vcc
	v_mov_b32_e32 v11, s3
	v_add_co_u32_e32 v15, vcc, s2, v5
	v_addc_co_u32_e32 v16, vcc, v6, v11, vcc
	global_store_dwordx4 v[15:16], v[1:4], off
	global_load_dwordx4 v[1:4], v[13:14], off offset:224
	ds_read_b128 v[5:8], v0 offset:4320
	ds_read_b128 v[9:12], v0 offset:4752
	s_waitcnt vmcnt(0) lgkmcnt(1)
	v_mul_f64 v[17:18], v[7:8], v[3:4]
	v_mul_f64 v[3:4], v[5:6], v[3:4]
	v_fma_f64 v[5:6], v[5:6], v[1:2], v[17:18]
	v_fma_f64 v[3:4], v[1:2], v[7:8], -v[3:4]
	v_mul_f64 v[1:2], v[5:6], s[0:1]
	v_mul_f64 v[3:4], v[3:4], s[0:1]
	v_mov_b32_e32 v6, s3
	v_add_co_u32_e32 v5, vcc, s2, v15
	v_addc_co_u32_e32 v6, vcc, v16, v6, vcc
	v_add_co_u32_e32 v15, vcc, s2, v5
	global_store_dwordx4 v[5:6], v[1:4], off
	global_load_dwordx4 v[1:4], v[13:14], off offset:656
	s_waitcnt vmcnt(0) lgkmcnt(0)
	v_mul_f64 v[7:8], v[11:12], v[3:4]
	v_mul_f64 v[3:4], v[9:10], v[3:4]
	v_fma_f64 v[7:8], v[9:10], v[1:2], v[7:8]
	v_fma_f64 v[3:4], v[1:2], v[11:12], -v[3:4]
	v_mul_f64 v[1:2], v[7:8], s[0:1]
	v_mul_f64 v[3:4], v[3:4], s[0:1]
	v_mov_b32_e32 v7, s3
	v_addc_co_u32_e32 v16, vcc, v6, v7, vcc
	global_store_dwordx4 v[15:16], v[1:4], off
	global_load_dwordx4 v[1:4], v[13:14], off offset:1088
	ds_read_b128 v[5:8], v0 offset:5184
	ds_read_b128 v[9:12], v0 offset:5616
	s_waitcnt vmcnt(0) lgkmcnt(1)
	v_mul_f64 v[17:18], v[7:8], v[3:4]
	v_mul_f64 v[3:4], v[5:6], v[3:4]
	v_fma_f64 v[5:6], v[5:6], v[1:2], v[17:18]
	v_fma_f64 v[3:4], v[1:2], v[7:8], -v[3:4]
	v_mul_f64 v[1:2], v[5:6], s[0:1]
	v_mul_f64 v[3:4], v[3:4], s[0:1]
	v_mov_b32_e32 v6, s3
	v_add_co_u32_e32 v5, vcc, s2, v15
	v_addc_co_u32_e32 v6, vcc, v16, v6, vcc
	v_add_co_u32_e32 v15, vcc, s2, v5
	global_store_dwordx4 v[5:6], v[1:4], off
	global_load_dwordx4 v[1:4], v[13:14], off offset:1520
	s_waitcnt vmcnt(0) lgkmcnt(0)
	v_mul_f64 v[7:8], v[11:12], v[3:4]
	v_mul_f64 v[3:4], v[9:10], v[3:4]
	v_fma_f64 v[7:8], v[9:10], v[1:2], v[7:8]
	v_fma_f64 v[3:4], v[1:2], v[11:12], -v[3:4]
	v_mul_f64 v[1:2], v[7:8], s[0:1]
	v_mul_f64 v[3:4], v[3:4], s[0:1]
	v_mov_b32_e32 v7, s3
	v_addc_co_u32_e32 v16, vcc, v6, v7, vcc
	global_store_dwordx4 v[15:16], v[1:4], off
	global_load_dwordx4 v[1:4], v[13:14], off offset:1952
	ds_read_b128 v[5:8], v0 offset:6048
	ds_read_b128 v[9:12], v0 offset:6480
	s_waitcnt vmcnt(0) lgkmcnt(1)
	v_mul_f64 v[17:18], v[7:8], v[3:4]
	v_mul_f64 v[3:4], v[5:6], v[3:4]
	v_fma_f64 v[5:6], v[5:6], v[1:2], v[17:18]
	v_fma_f64 v[3:4], v[1:2], v[7:8], -v[3:4]
	v_mul_f64 v[1:2], v[5:6], s[0:1]
	v_mul_f64 v[3:4], v[3:4], s[0:1]
	v_mov_b32_e32 v6, s3
	v_add_co_u32_e32 v5, vcc, s2, v15
	v_addc_co_u32_e32 v6, vcc, v16, v6, vcc
	global_store_dwordx4 v[5:6], v[1:4], off
	global_load_dwordx4 v[1:4], v[13:14], off offset:2384
	s_waitcnt vmcnt(0) lgkmcnt(0)
	v_mul_f64 v[7:8], v[11:12], v[3:4]
	v_mul_f64 v[3:4], v[9:10], v[3:4]
	v_fma_f64 v[7:8], v[9:10], v[1:2], v[7:8]
	v_fma_f64 v[3:4], v[1:2], v[11:12], -v[3:4]
	v_add_co_u32_e32 v9, vcc, s2, v5
	v_mul_f64 v[1:2], v[7:8], s[0:1]
	v_mul_f64 v[3:4], v[3:4], s[0:1]
	v_mov_b32_e32 v7, s3
	v_addc_co_u32_e32 v10, vcc, v6, v7, vcc
	ds_read_b128 v[5:8], v0 offset:6912
	global_store_dwordx4 v[9:10], v[1:4], off
	global_load_dwordx4 v[1:4], v[13:14], off offset:2816
	s_waitcnt vmcnt(0) lgkmcnt(0)
	v_mul_f64 v[11:12], v[7:8], v[3:4]
	v_mul_f64 v[3:4], v[5:6], v[3:4]
	v_fma_f64 v[5:6], v[5:6], v[1:2], v[11:12]
	v_fma_f64 v[2:3], v[1:2], v[7:8], -v[3:4]
	v_add_co_u32_e32 v4, vcc, s2, v9
	v_mul_f64 v[0:1], v[5:6], s[0:1]
	v_mul_f64 v[2:3], v[2:3], s[0:1]
	v_mov_b32_e32 v5, s3
	v_addc_co_u32_e32 v5, vcc, v10, v5, vcc
	global_store_dwordx4 v[4:5], v[0:3], off
.LBB0_15:
	s_endpgm
	.section	.rodata,"a",@progbits
	.p2align	6, 0x0
	.amdhsa_kernel bluestein_single_back_len459_dim1_dp_op_CI_CI
		.amdhsa_group_segment_fixed_size 36720
		.amdhsa_private_segment_fixed_size 676
		.amdhsa_kernarg_size 104
		.amdhsa_user_sgpr_count 6
		.amdhsa_user_sgpr_private_segment_buffer 1
		.amdhsa_user_sgpr_dispatch_ptr 0
		.amdhsa_user_sgpr_queue_ptr 0
		.amdhsa_user_sgpr_kernarg_segment_ptr 1
		.amdhsa_user_sgpr_dispatch_id 0
		.amdhsa_user_sgpr_flat_scratch_init 0
		.amdhsa_user_sgpr_private_segment_size 0
		.amdhsa_uses_dynamic_stack 0
		.amdhsa_system_sgpr_private_segment_wavefront_offset 1
		.amdhsa_system_sgpr_workgroup_id_x 1
		.amdhsa_system_sgpr_workgroup_id_y 0
		.amdhsa_system_sgpr_workgroup_id_z 0
		.amdhsa_system_sgpr_workgroup_info 0
		.amdhsa_system_vgpr_workitem_id 0
		.amdhsa_next_free_vgpr 256
		.amdhsa_next_free_sgpr 64
		.amdhsa_reserve_vcc 1
		.amdhsa_reserve_flat_scratch 0
		.amdhsa_float_round_mode_32 0
		.amdhsa_float_round_mode_16_64 0
		.amdhsa_float_denorm_mode_32 3
		.amdhsa_float_denorm_mode_16_64 3
		.amdhsa_dx10_clamp 1
		.amdhsa_ieee_mode 1
		.amdhsa_fp16_overflow 0
		.amdhsa_exception_fp_ieee_invalid_op 0
		.amdhsa_exception_fp_denorm_src 0
		.amdhsa_exception_fp_ieee_div_zero 0
		.amdhsa_exception_fp_ieee_overflow 0
		.amdhsa_exception_fp_ieee_underflow 0
		.amdhsa_exception_fp_ieee_inexact 0
		.amdhsa_exception_int_div_zero 0
	.end_amdhsa_kernel
	.text
.Lfunc_end0:
	.size	bluestein_single_back_len459_dim1_dp_op_CI_CI, .Lfunc_end0-bluestein_single_back_len459_dim1_dp_op_CI_CI
                                        ; -- End function
	.section	.AMDGPU.csdata,"",@progbits
; Kernel info:
; codeLenInByte = 26696
; NumSgprs: 68
; NumVgprs: 256
; ScratchSize: 676
; MemoryBound: 0
; FloatMode: 240
; IeeeMode: 1
; LDSByteSize: 36720 bytes/workgroup (compile time only)
; SGPRBlocks: 8
; VGPRBlocks: 63
; NumSGPRsForWavesPerEU: 68
; NumVGPRsForWavesPerEU: 256
; Occupancy: 1
; WaveLimiterHint : 1
; COMPUTE_PGM_RSRC2:SCRATCH_EN: 1
; COMPUTE_PGM_RSRC2:USER_SGPR: 6
; COMPUTE_PGM_RSRC2:TRAP_HANDLER: 0
; COMPUTE_PGM_RSRC2:TGID_X_EN: 1
; COMPUTE_PGM_RSRC2:TGID_Y_EN: 0
; COMPUTE_PGM_RSRC2:TGID_Z_EN: 0
; COMPUTE_PGM_RSRC2:TIDIG_COMP_CNT: 0
	.type	__hip_cuid_aedf8c8951f1b776,@object ; @__hip_cuid_aedf8c8951f1b776
	.section	.bss,"aw",@nobits
	.globl	__hip_cuid_aedf8c8951f1b776
__hip_cuid_aedf8c8951f1b776:
	.byte	0                               ; 0x0
	.size	__hip_cuid_aedf8c8951f1b776, 1

	.ident	"AMD clang version 19.0.0git (https://github.com/RadeonOpenCompute/llvm-project roc-6.4.0 25133 c7fe45cf4b819c5991fe208aaa96edf142730f1d)"
	.section	".note.GNU-stack","",@progbits
	.addrsig
	.addrsig_sym __hip_cuid_aedf8c8951f1b776
	.amdgpu_metadata
---
amdhsa.kernels:
  - .args:
      - .actual_access:  read_only
        .address_space:  global
        .offset:         0
        .size:           8
        .value_kind:     global_buffer
      - .actual_access:  read_only
        .address_space:  global
        .offset:         8
        .size:           8
        .value_kind:     global_buffer
      - .actual_access:  read_only
        .address_space:  global
        .offset:         16
        .size:           8
        .value_kind:     global_buffer
      - .actual_access:  read_only
        .address_space:  global
        .offset:         24
        .size:           8
        .value_kind:     global_buffer
      - .actual_access:  read_only
        .address_space:  global
        .offset:         32
        .size:           8
        .value_kind:     global_buffer
      - .offset:         40
        .size:           8
        .value_kind:     by_value
      - .address_space:  global
        .offset:         48
        .size:           8
        .value_kind:     global_buffer
      - .address_space:  global
        .offset:         56
        .size:           8
        .value_kind:     global_buffer
      - .address_space:  global
        .offset:         64
        .size:           8
        .value_kind:     global_buffer
      - .address_space:  global
        .offset:         72
        .size:           8
        .value_kind:     global_buffer
      - .offset:         80
        .size:           4
        .value_kind:     by_value
      - .address_space:  global
        .offset:         88
        .size:           8
        .value_kind:     global_buffer
      - .address_space:  global
        .offset:         96
        .size:           8
        .value_kind:     global_buffer
    .group_segment_fixed_size: 36720
    .kernarg_segment_align: 8
    .kernarg_segment_size: 104
    .language:       OpenCL C
    .language_version:
      - 2
      - 0
    .max_flat_workgroup_size: 255
    .name:           bluestein_single_back_len459_dim1_dp_op_CI_CI
    .private_segment_fixed_size: 676
    .sgpr_count:     68
    .sgpr_spill_count: 0
    .symbol:         bluestein_single_back_len459_dim1_dp_op_CI_CI.kd
    .uniform_work_group_size: 1
    .uses_dynamic_stack: false
    .vgpr_count:     256
    .vgpr_spill_count: 207
    .wavefront_size: 64
amdhsa.target:   amdgcn-amd-amdhsa--gfx906
amdhsa.version:
  - 1
  - 2
...

	.end_amdgpu_metadata
